;; amdgpu-corpus repo=ROCm/rocFFT kind=compiled arch=gfx1030 opt=O3
	.text
	.amdgcn_target "amdgcn-amd-amdhsa--gfx1030"
	.amdhsa_code_object_version 6
	.protected	bluestein_single_back_len945_dim1_half_op_CI_CI ; -- Begin function bluestein_single_back_len945_dim1_half_op_CI_CI
	.globl	bluestein_single_back_len945_dim1_half_op_CI_CI
	.p2align	8
	.type	bluestein_single_back_len945_dim1_half_op_CI_CI,@function
bluestein_single_back_len945_dim1_half_op_CI_CI: ; @bluestein_single_back_len945_dim1_half_op_CI_CI
; %bb.0:
	s_load_dwordx4 s[8:11], s[4:5], 0x28
	v_mul_u32_u24_e32 v1, 0x411, v0
	v_mov_b32_e32 v25, 0
	s_mov_b32 s0, exec_lo
	v_lshrrev_b32_e32 v1, 16, v1
	v_add_nc_u32_e32 v24, s6, v1
	s_waitcnt lgkmcnt(0)
	v_cmpx_gt_u64_e64 s[8:9], v[24:25]
	s_cbranch_execz .LBB0_10
; %bb.1:
	s_clause 0x1
	s_load_dwordx4 s[0:3], s[4:5], 0x18
	s_load_dwordx4 s[12:15], s[4:5], 0x0
	v_mul_lo_u16 v1, v1, 63
	s_load_dwordx2 s[4:5], s[4:5], 0x38
	v_sub_nc_u16 v2, v0, v1
	v_and_b32_e32 v85, 0xffff, v2
	v_lshlrev_b32_e32 v71, 2, v85
	s_waitcnt lgkmcnt(0)
	s_load_dwordx4 s[16:19], s[0:1], 0x0
	s_clause 0x1
	global_load_dword v86, v71, s[12:13]
	global_load_dword v87, v71, s[12:13] offset:1260
	v_add_co_u32 v8, s0, s12, v71
	v_add_co_ci_u32_e64 v10, null, s13, 0, s0
	v_add_nc_u32_e32 v19, 0x400, v71
	v_add_co_u32 v9, vcc_lo, 0x800, v8
	v_add_co_ci_u32_e32 v10, vcc_lo, 0, v10, vcc_lo
	v_add_nc_u32_e32 v18, 0x800, v71
	v_add_nc_u32_e32 v17, 0x600, v71
	;; [unrolled: 1-line block ×4, first 2 shown]
	s_waitcnt lgkmcnt(0)
	v_mad_u64_u32 v[0:1], null, s18, v24, 0
	v_mad_u64_u32 v[3:4], null, s16, v85, 0
	s_mul_i32 s1, s17, 0x4ec
	s_mul_hi_u32 s6, s16, 0x4ec
	s_mul_i32 s0, s16, 0x4ec
	s_add_i32 s6, s6, s1
	v_mad_u64_u32 v[5:6], null, s19, v24, v[1:2]
	s_mul_hi_u32 s8, s16, 0xfffff724
	s_mul_i32 s7, s17, 0xfffff724
	s_mul_i32 s9, s16, 0xfffff724
	s_sub_i32 s1, s8, s16
	s_add_i32 s1, s1, s7
	v_mad_u64_u32 v[6:7], null, s17, v85, v[4:5]
	v_mov_b32_e32 v1, v5
	v_and_b32_e32 v5, 0xff, v2
	v_lshlrev_b64 v[0:1], 2, v[0:1]
	v_mov_b32_e32 v4, v6
	v_mul_lo_u16 v6, v2, 3
	v_add_co_u32 v0, vcc_lo, s10, v0
	v_lshlrev_b64 v[3:4], 2, v[3:4]
	v_add_co_ci_u32_e32 v1, vcc_lo, s11, v1, vcc_lo
	v_add_co_u32 v0, vcc_lo, v0, v3
	v_add_co_ci_u32_e32 v1, vcc_lo, v1, v4, vcc_lo
	global_load_dword v12, v[0:1], off
	v_add_co_u32 v0, vcc_lo, v0, s0
	v_add_co_ci_u32_e32 v1, vcc_lo, s6, v1, vcc_lo
	v_add_co_u32 v3, vcc_lo, v0, s0
	v_add_co_ci_u32_e32 v4, vcc_lo, s6, v1, vcc_lo
	global_load_dword v13, v[0:1], off
	v_add_co_u32 v0, vcc_lo, v3, s9
	v_add_co_ci_u32_e32 v1, vcc_lo, s1, v4, vcc_lo
	global_load_dword v8, v[3:4], off
	s_clause 0x1
	global_load_dword v83, v71, s[12:13] offset:252
	global_load_dword v84, v[9:10], off offset:472
	global_load_dword v11, v[0:1], off
	v_add_co_u32 v0, vcc_lo, v0, s0
	v_add_co_ci_u32_e32 v1, vcc_lo, s6, v1, vcc_lo
	v_add_co_u32 v3, vcc_lo, v0, s0
	v_add_co_ci_u32_e32 v4, vcc_lo, s6, v1, vcc_lo
	global_load_dword v15, v[0:1], off
	s_clause 0x2
	global_load_dword v82, v71, s[12:13] offset:1512
	global_load_dword v80, v71, s[12:13] offset:504
	global_load_dword v81, v[9:10], off offset:724
	global_load_dword v23, v[3:4], off
	v_add_co_u32 v0, vcc_lo, v3, s9
	v_add_co_ci_u32_e32 v1, vcc_lo, s1, v4, vcc_lo
	global_load_dword v79, v71, s[12:13] offset:1764
	v_add_co_u32 v3, vcc_lo, v0, s0
	v_add_co_ci_u32_e32 v4, vcc_lo, s6, v1, vcc_lo
	global_load_dword v25, v[0:1], off
	v_add_co_u32 v0, vcc_lo, v3, s0
	v_add_co_ci_u32_e32 v1, vcc_lo, s6, v4, vcc_lo
	global_load_dword v26, v[3:4], off
	v_add_co_u32 v3, vcc_lo, v0, s9
	v_add_co_ci_u32_e32 v4, vcc_lo, s1, v1, vcc_lo
	s_clause 0x1
	global_load_dword v77, v71, s[12:13] offset:756
	global_load_dword v76, v71, s[12:13] offset:2016
	global_load_dword v28, v[0:1], off
	global_load_dword v78, v[9:10], off offset:976
	global_load_dword v27, v[3:4], off
	v_add_co_u32 v0, vcc_lo, v3, s0
	v_add_co_ci_u32_e32 v1, vcc_lo, s6, v4, vcc_lo
	global_load_dword v75, v[9:10], off offset:1228
	v_add_co_u32 v3, vcc_lo, v0, s0
	v_add_co_ci_u32_e32 v4, vcc_lo, s6, v1, vcc_lo
	global_load_dword v29, v[0:1], off
	v_add_co_u32 v0, vcc_lo, v3, s9
	v_add_co_ci_u32_e32 v1, vcc_lo, s1, v4, vcc_lo
	global_load_dword v30, v[3:4], off
	;; [unrolled: 3-line block ×3, first 2 shown]
	v_add_co_u32 v0, vcc_lo, v3, s0
	v_add_co_ci_u32_e32 v1, vcc_lo, s6, v4, vcc_lo
	global_load_dword v74, v71, s[12:13] offset:1008
	global_load_dword v32, v[3:4], off
	global_load_dword v33, v[0:1], off
	s_clause 0x1
	global_load_dword v72, v[9:10], off offset:1480
	global_load_dword v73, v[9:10], off offset:220
	v_mov_b32_e32 v0, 2
	v_mov_b32_e32 v1, 0xaaab
	v_add_co_u32 v4, null, v85, 63
	v_add_co_u32 v10, null, 0xfc, v85
	v_lshlrev_b32_sdwa v88, v0, v6 dst_sel:DWORD dst_unused:UNUSED_PAD src0_sel:DWORD src1_sel:WORD_0
	v_mul_lo_u16 v6, 0xab, v5
	v_add_co_u32 v3, null, 0x7e, v85
	v_add_co_u32 v9, null, 0xbd, v85
	v_mul_u32_u24_sdwa v21, v10, v1 dst_sel:DWORD dst_unused:UNUSED_PAD src0_sel:WORD_0 src1_sel:DWORD
	v_mul_u32_u24_e32 v34, 3, v4
	v_lshrrev_b16 v14, 9, v6
	v_and_b32_e32 v6, 0xff, v4
	v_mul_u32_u24_e32 v35, 3, v3
	v_mul_u32_u24_e32 v36, 3, v9
	v_lshrrev_b32_e32 v21, 17, v21
	v_lshlrev_b32_e32 v92, 2, v34
	v_mul_lo_u16 v34, 0xab, v6
	v_lshlrev_b32_e32 v91, 2, v35
	v_lshlrev_b32_e32 v90, 2, v36
	v_mul_lo_u16 v35, v14, 3
	v_mul_lo_u16 v39, v21, 3
	v_lshrrev_b16 v36, 9, v34
	v_add_nc_u32_e32 v1, 0x200, v71
	s_load_dwordx4 s[8:11], s[2:3], 0x0
	v_sub_nc_u16 v40, v2, v35
	v_sub_nc_u16 v35, v10, v39
	v_mul_u32_u24_e32 v37, 3, v10
	v_and_b32_e32 v7, 0xff, v3
	v_and_b32_e32 v22, 0xff, v9
	v_mul_lo_u16 v43, v36, 3
	v_mad_u16 v21, v21, 9, v35
	v_lshlrev_b32_e32 v89, 2, v37
	v_mul_lo_u16 v37, 0xab, v7
	v_mul_lo_u16 v38, 0xab, v22
	v_cmp_gt_u16_e32 vcc_lo, 9, v2
	v_lshlrev_b32_sdwa v94, v0, v21 dst_sel:DWORD dst_unused:UNUSED_PAD src0_sel:DWORD src1_sel:WORD_0
	v_lshrrev_b16 v37, 9, v37
	v_lshrrev_b16 v38, 9, v38
	s_waitcnt vmcnt(27)
	v_lshrrev_b32_e32 v34, 16, v12
	v_mul_f16_sdwa v39, v86, v12 dst_sel:DWORD dst_unused:UNUSED_PAD src0_sel:WORD_1 src1_sel:DWORD
	v_mul_f16_sdwa v41, v86, v34 dst_sel:DWORD dst_unused:UNUSED_PAD src0_sel:WORD_1 src1_sel:DWORD
	v_fma_f16 v34, v86, v34, -v39
	s_waitcnt vmcnt(26)
	v_lshrrev_b32_e32 v42, 16, v13
	v_mul_f16_sdwa v44, v87, v13 dst_sel:DWORD dst_unused:UNUSED_PAD src0_sel:WORD_1 src1_sel:DWORD
	v_fmac_f16_e32 v41, v86, v12
	s_waitcnt vmcnt(25)
	v_lshrrev_b32_e32 v39, 16, v8
	v_mul_f16_sdwa v12, v87, v42 dst_sel:DWORD dst_unused:UNUSED_PAD src0_sel:WORD_1 src1_sel:DWORD
	v_fma_f16 v42, v87, v42, -v44
	s_waitcnt vmcnt(23)
	v_mul_f16_sdwa v44, v84, v8 dst_sel:DWORD dst_unused:UNUSED_PAD src0_sel:WORD_1 src1_sel:DWORD
	v_pack_b32_f16 v34, v41, v34
	s_waitcnt vmcnt(22)
	v_lshrrev_b32_e32 v41, 16, v11
	v_fmac_f16_e32 v12, v87, v13
	v_mul_f16_sdwa v13, v84, v39 dst_sel:DWORD dst_unused:UNUSED_PAD src0_sel:WORD_1 src1_sel:DWORD
	v_mul_f16_sdwa v45, v83, v11 dst_sel:DWORD dst_unused:UNUSED_PAD src0_sel:WORD_1 src1_sel:DWORD
	v_fma_f16 v39, v84, v39, -v44
	s_waitcnt vmcnt(20)
	v_mul_f16_sdwa v44, v82, v15 dst_sel:DWORD dst_unused:UNUSED_PAD src0_sel:WORD_1 src1_sel:DWORD
	v_pack_b32_f16 v12, v12, v42
	v_fmac_f16_e32 v13, v84, v8
	v_mul_f16_sdwa v8, v83, v41 dst_sel:DWORD dst_unused:UNUSED_PAD src0_sel:WORD_1 src1_sel:DWORD
	v_lshrrev_b32_e32 v42, 16, v15
	v_fma_f16 v41, v83, v41, -v45
	ds_write_b32 v71, v12 offset:1260
	v_pack_b32_f16 v12, v13, v39
	v_fmac_f16_e32 v8, v83, v11
	v_mul_f16_sdwa v11, v82, v42 dst_sel:DWORD dst_unused:UNUSED_PAD src0_sel:WORD_1 src1_sel:DWORD
	s_waitcnt vmcnt(17)
	v_lshrrev_b32_e32 v39, 16, v23
	v_fma_f16 v13, v82, v42, -v44
	v_mul_f16_sdwa v42, v81, v23 dst_sel:DWORD dst_unused:UNUSED_PAD src0_sel:WORD_1 src1_sel:DWORD
	ds_write_b32 v71, v12 offset:2520
	v_pack_b32_f16 v8, v8, v41
	v_fmac_f16_e32 v11, v82, v15
	v_mul_f16_sdwa v12, v81, v39 dst_sel:DWORD dst_unused:UNUSED_PAD src0_sel:WORD_1 src1_sel:DWORD
	v_fma_f16 v15, v81, v39, -v42
	s_waitcnt vmcnt(15)
	v_lshrrev_b32_e32 v39, 16, v25
	ds_write2_b32 v71, v34, v8 offset1:63
	v_pack_b32_f16 v8, v11, v13
	v_fmac_f16_e32 v12, v81, v23
	s_waitcnt vmcnt(14)
	v_lshrrev_b32_e32 v13, 16, v26
	v_mul_f16_sdwa v41, v80, v25 dst_sel:DWORD dst_unused:UNUSED_PAD src0_sel:WORD_1 src1_sel:DWORD
	v_mul_f16_sdwa v11, v80, v39 dst_sel:DWORD dst_unused:UNUSED_PAD src0_sel:WORD_1 src1_sel:DWORD
	;; [unrolled: 1-line block ×3, first 2 shown]
	v_pack_b32_f16 v12, v12, v15
	v_mul_f16_sdwa v15, v79, v13 dst_sel:DWORD dst_unused:UNUSED_PAD src0_sel:WORD_1 src1_sel:DWORD
	v_fma_f16 v23, v80, v39, -v41
	v_fmac_f16_e32 v11, v80, v25
	s_waitcnt vmcnt(11)
	v_lshrrev_b32_e32 v25, 16, v28
	v_fma_f16 v13, v79, v13, -v34
	v_fmac_f16_e32 v15, v79, v26
	s_waitcnt vmcnt(9)
	v_lshrrev_b32_e32 v26, 16, v27
	v_mul_f16_sdwa v34, v78, v28 dst_sel:DWORD dst_unused:UNUSED_PAD src0_sel:WORD_1 src1_sel:DWORD
	v_pack_b32_f16 v11, v11, v23
	v_mul_f16_sdwa v23, v78, v25 dst_sel:DWORD dst_unused:UNUSED_PAD src0_sel:WORD_1 src1_sel:DWORD
	v_mul_f16_sdwa v39, v77, v27 dst_sel:DWORD dst_unused:UNUSED_PAD src0_sel:WORD_1 src1_sel:DWORD
	v_pack_b32_f16 v13, v15, v13
	v_mul_f16_sdwa v15, v77, v26 dst_sel:DWORD dst_unused:UNUSED_PAD src0_sel:WORD_1 src1_sel:DWORD
	v_fma_f16 v25, v78, v25, -v34
	v_fmac_f16_e32 v23, v78, v28
	s_waitcnt vmcnt(7)
	v_lshrrev_b32_e32 v28, 16, v29
	v_fma_f16 v26, v77, v26, -v39
	v_mul_f16_sdwa v34, v76, v29 dst_sel:DWORD dst_unused:UNUSED_PAD src0_sel:WORD_1 src1_sel:DWORD
	ds_write2_b32 v19, v8, v13 offset0:122 offset1:185
	v_fmac_f16_e32 v15, v77, v27
	s_waitcnt vmcnt(6)
	v_lshrrev_b32_e32 v13, 16, v30
	v_pack_b32_f16 v8, v23, v25
	v_mul_f16_sdwa v23, v76, v28 dst_sel:DWORD dst_unused:UNUSED_PAD src0_sel:WORD_1 src1_sel:DWORD
	v_mul_f16_sdwa v27, v75, v30 dst_sel:DWORD dst_unused:UNUSED_PAD src0_sel:WORD_1 src1_sel:DWORD
	v_fma_f16 v25, v76, v28, -v34
	v_pack_b32_f16 v15, v15, v26
	v_mul_f16_sdwa v26, v75, v13 dst_sel:DWORD dst_unused:UNUSED_PAD src0_sel:WORD_1 src1_sel:DWORD
	s_waitcnt vmcnt(5)
	v_lshrrev_b32_e32 v28, 16, v31
	v_fmac_f16_e32 v23, v76, v29
	v_fma_f16 v13, v75, v13, -v27
	s_waitcnt vmcnt(4)
	v_mul_f16_sdwa v27, v74, v31 dst_sel:DWORD dst_unused:UNUSED_PAD src0_sel:WORD_1 src1_sel:DWORD
	s_waitcnt vmcnt(3)
	v_lshrrev_b32_e32 v29, 16, v32
	s_waitcnt vmcnt(2)
	v_lshrrev_b32_e32 v34, 16, v33
	v_fmac_f16_e32 v26, v75, v30
	v_mul_f16_sdwa v30, v74, v28 dst_sel:DWORD dst_unused:UNUSED_PAD src0_sel:WORD_1 src1_sel:DWORD
	v_fma_f16 v27, v74, v28, -v27
	s_waitcnt vmcnt(0)
	v_mul_f16_sdwa v28, v73, v32 dst_sel:DWORD dst_unused:UNUSED_PAD src0_sel:WORD_1 src1_sel:DWORD
	v_mul_f16_sdwa v39, v73, v29 dst_sel:DWORD dst_unused:UNUSED_PAD src0_sel:WORD_1 src1_sel:DWORD
	;; [unrolled: 1-line block ×4, first 2 shown]
	v_fmac_f16_e32 v30, v74, v31
	v_fma_f16 v28, v73, v29, -v28
	v_fmac_f16_e32 v39, v73, v32
	v_fma_f16 v29, v72, v34, -v41
	v_fmac_f16_e32 v42, v72, v33
	v_pack_b32_f16 v23, v23, v25
	v_pack_b32_f16 v25, v30, v27
	;; [unrolled: 1-line block ×5, first 2 shown]
	ds_write2_b32 v18, v12, v8 offset0:181 offset1:244
	ds_write2_b32 v71, v11, v15 offset0:126 offset1:189
	ds_write_b32 v71, v25 offset:1008
	ds_write2_b32 v17, v23, v26 offset0:120 offset1:183
	ds_write2_b32 v20, v13, v27 offset0:51 offset1:114
	s_waitcnt lgkmcnt(0)
	s_barrier
	buffer_gl0_inv
	ds_read2_b32 v[11:12], v71 offset1:63
	ds_read2_b32 v[25:26], v19 offset0:122 offset1:185
	ds_read2_b32 v[27:28], v18 offset0:118 offset1:181
	;; [unrolled: 1-line block ×5, first 2 shown]
	v_and_b32_e32 v39, 0xff, v40
	ds_read2_b32 v[40:41], v1 offset0:124 offset1:187
	ds_read_b32 v42, v71 offset:3528
	v_mul_lo_u16 v8, v37, 3
	v_mul_lo_u16 v13, v38, 3
	v_sub_nc_u16 v23, v4, v43
	v_lshlrev_b16 v15, 1, v35
	s_waitcnt lgkmcnt(0)
	v_sub_nc_u16 v8, v3, v8
	v_sub_nc_u16 v13, v9, v13
	v_and_b32_e32 v23, 0xff, v23
	s_barrier
	buffer_gl0_inv
	v_lshlrev_b32_e32 v43, 3, v39
	v_lshlrev_b32_sdwa v15, v0, v15 dst_sel:DWORD dst_unused:UNUSED_PAD src0_sel:DWORD src1_sel:WORD_0
	v_pk_add_f16 v44, v12, v25
	v_pk_add_f16 v45, v25, v28
	v_pk_add_f16 v25, v25, v28 neg_lo:[0,1] neg_hi:[0,1]
	v_pk_add_f16 v46, v29, v26
	v_pk_add_f16 v47, v30, v31
	;; [unrolled: 1-line block ×3, first 2 shown]
	v_pk_add_f16 v26, v26, v33 neg_lo:[0,1] neg_hi:[0,1]
	v_pk_add_f16 v49, v31, v34
	v_pk_add_f16 v31, v31, v34 neg_lo:[0,1] neg_hi:[0,1]
	v_pk_add_f16 v51, v11, v41
	v_pk_add_f16 v53, v41, v27
	v_pk_add_f16 v41, v41, v27 neg_lo:[0,1] neg_hi:[0,1]
	v_pk_add_f16 v50, v40, v32
	v_pk_add_f16 v52, v32, v42
	v_pk_add_f16 v32, v32, v42 neg_lo:[0,1] neg_hi:[0,1]
	v_pk_fma_f16 v29, v48, 0.5, v29 op_sel_hi:[1,0,1] neg_lo:[1,0,0] neg_hi:[1,0,0]
	v_pk_fma_f16 v30, v49, 0.5, v30 op_sel_hi:[1,0,1] neg_lo:[1,0,0] neg_hi:[1,0,0]
	;; [unrolled: 1-line block ×3, first 2 shown]
	v_pk_mul_f16 v25, 0x3aee, v25 op_sel_hi:[0,1]
	v_pk_mul_f16 v26, 0x3aee, v26 op_sel_hi:[0,1]
	;; [unrolled: 1-line block ×3, first 2 shown]
	v_pk_fma_f16 v11, v53, 0.5, v11 op_sel_hi:[1,0,1] neg_lo:[1,0,0] neg_hi:[1,0,0]
	v_pk_mul_f16 v41, 0x3aee, v41 op_sel_hi:[0,1]
	v_pk_add_f16 v28, v44, v28
	v_pk_fma_f16 v40, v52, 0.5, v40 op_sel_hi:[1,0,1] neg_lo:[1,0,0] neg_hi:[1,0,0]
	v_pk_mul_f16 v32, 0x3aee, v32 op_sel_hi:[0,1]
	v_pk_add_f16 v44, v12, v25 op_sel:[0,1] op_sel_hi:[1,0]
	v_pk_add_f16 v12, v12, v25 op_sel:[0,1] op_sel_hi:[1,0] neg_lo:[0,1] neg_hi:[0,1]
	v_pk_add_f16 v25, v29, v26 op_sel:[0,1] op_sel_hi:[1,0]
	v_pk_add_f16 v26, v29, v26 op_sel:[0,1] op_sel_hi:[1,0] neg_lo:[0,1] neg_hi:[0,1]
	;; [unrolled: 2-line block ×4, first 2 shown]
	v_pk_add_f16 v27, v51, v27
	v_pk_add_f16 v41, v40, v32 op_sel:[0,1] op_sel_hi:[1,0]
	v_pk_add_f16 v32, v40, v32 op_sel:[0,1] op_sel_hi:[1,0] neg_lo:[0,1] neg_hi:[0,1]
	v_bfi_b32 v40, 0xffff, v44, v12
	v_bfi_b32 v45, 0xffff, v31, v11
	;; [unrolled: 1-line block ×4, first 2 shown]
	v_pk_add_f16 v33, v46, v33
	v_bfi_b32 v44, 0xffff, v25, v26
	v_pk_add_f16 v34, v47, v34
	v_pk_add_f16 v42, v50, v42
	v_bfi_b32 v25, 0xffff, v26, v25
	v_bfi_b32 v26, 0xffff, v29, v30
	v_bfi_b32 v29, 0xffff, v30, v29
	v_bfi_b32 v30, 0xffff, v41, v32
	v_bfi_b32 v31, 0xffff, v32, v41
	ds_write2_b32 v88, v27, v45 offset1:1
	ds_write_b32 v88, v11 offset:8
	ds_write2_b32 v92, v28, v40 offset1:1
	ds_write_b32 v92, v12 offset:8
	;; [unrolled: 2-line block ×5, first 2 shown]
	v_and_b32_e32 v44, 0xff, v8
	v_lshlrev_b32_e32 v8, 3, v23
	v_and_b32_e32 v45, 0xff, v13
	s_waitcnt lgkmcnt(0)
	s_barrier
	v_lshlrev_b32_e32 v11, 3, v44
	buffer_gl0_inv
	s_clause 0x2
	global_load_dwordx2 v[25:26], v15, s[14:15]
	global_load_dwordx2 v[27:28], v43, s[14:15]
	;; [unrolled: 1-line block ×3, first 2 shown]
	v_lshlrev_b32_e32 v8, 3, v45
	s_clause 0x1
	global_load_dwordx2 v[33:34], v11, s[14:15]
	global_load_dwordx2 v[31:32], v8, s[14:15]
	v_mov_b32_e32 v8, 0xe38f
	v_mul_lo_u16 v11, v5, 57
	v_mov_b32_e32 v40, 9
	v_mul_lo_u16 v15, v6, 57
	v_mul_lo_u16 v5, v5, 19
	v_mul_u32_u24_sdwa v8, v10, v8 dst_sel:DWORD dst_unused:UNUSED_PAD src0_sel:WORD_0 src1_sel:DWORD
	v_lshrrev_b16 v13, 9, v11
	v_mul_u32_u24_sdwa v41, v14, v40 dst_sel:DWORD dst_unused:UNUSED_PAD src0_sel:WORD_0 src1_sel:DWORD
	v_mul_lo_u16 v11, v22, 57
	v_mul_lo_u16 v22, v7, 57
	v_lshrrev_b32_e32 v8, 19, v8
	v_mul_lo_u16 v14, v13, 9
	v_mul_u32_u24_sdwa v43, v36, v40 dst_sel:DWORD dst_unused:UNUSED_PAD src0_sel:WORD_0 src1_sel:DWORD
	v_lshrrev_b16 v12, 9, v11
	v_mul_u32_u24_sdwa v46, v37, v40 dst_sel:DWORD dst_unused:UNUSED_PAD src0_sel:WORD_0 src1_sel:DWORD
	v_mul_lo_u16 v42, v8, 9
	v_sub_nc_u16 v11, v2, v14
	v_lshrrev_b16 v14, 9, v15
	v_lshrrev_b16 v15, 9, v22
	v_mul_u32_u24_sdwa v47, v38, v40 dst_sel:DWORD dst_unused:UNUSED_PAD src0_sel:WORD_0 src1_sel:DWORD
	v_sub_nc_u16 v10, v10, v42
	v_mul_lo_u16 v22, v12, 9
	v_mul_lo_u16 v36, v14, 9
	;; [unrolled: 1-line block ×3, first 2 shown]
	v_add_lshl_u32 v93, v41, v39, 2
	v_lshlrev_b16 v38, 3, v10
	v_sub_nc_u16 v49, v9, v22
	v_sub_nc_u16 v9, v4, v36
	;; [unrolled: 1-line block ×3, first 2 shown]
	ds_read2_b32 v[21:22], v17 offset0:120 offset1:183
	ds_read_b32 v52, v71 offset:3528
	ds_read2_b32 v[35:36], v1 offset0:124 offset1:187
	v_and_b32_e32 v48, 0xffff, v38
	ds_read2_b32 v[37:38], v18 offset0:118 offset1:181
	ds_read2_b32 v[39:40], v19 offset0:122 offset1:185
	ds_read2_b32 v[41:42], v71 offset1:63
	v_add_lshl_u32 v97, v43, v23, 2
	v_add_lshl_u32 v96, v46, v44, 2
	;; [unrolled: 1-line block ×3, first 2 shown]
	ds_read2_b32 v[43:44], v16 offset0:116 offset1:179
	ds_read2_b32 v[45:46], v71 offset0:126 offset1:189
	v_and_b32_e32 v11, 0xff, v11
	v_and_b32_e32 v9, 0xff, v9
	s_waitcnt vmcnt(0) lgkmcnt(0)
	s_barrier
	buffer_gl0_inv
	v_lshlrev_b32_e32 v51, 3, v11
	v_add_co_u32 v47, s0, s14, v48
	v_add_co_ci_u32_e64 v48, null, s15, 0, s0
	v_lshrrev_b32_e32 v23, 16, v22
	v_lshrrev_b32_e32 v53, 16, v52
	;; [unrolled: 1-line block ×15, first 2 shown]
	v_mul_lo_u16 v7, v7, 19
	v_mul_lo_u16 v6, v6, 19
	v_mad_u16 v10, v8, 27, v10
	v_mul_f16_sdwa v67, v23, v25 dst_sel:DWORD dst_unused:UNUSED_PAD src0_sel:DWORD src1_sel:WORD_1
	v_mul_f16_sdwa v68, v53, v26 dst_sel:DWORD dst_unused:UNUSED_PAD src0_sel:DWORD src1_sel:WORD_1
	;; [unrolled: 1-line block ×20, first 2 shown]
	v_fma_f16 v22, v22, v25, -v67
	v_fma_f16 v52, v52, v26, -v68
	v_fmac_f16_e32 v69, v23, v25
	v_fmac_f16_e32 v70, v53, v26
	v_fma_f16 v23, v36, v27, -v98
	v_fma_f16 v36, v37, v28, -v100
	v_fmac_f16_e32 v102, v57, v30
	v_fmac_f16_e32 v104, v58, v29
	;; [unrolled: 1-line block ×4, first 2 shown]
	v_fma_f16 v37, v38, v30, -v101
	v_fma_f16 v38, v39, v29, -v105
	;; [unrolled: 1-line block ×4, first 2 shown]
	v_fmac_f16_e32 v109, v62, v31
	v_fmac_f16_e32 v112, v64, v32
	;; [unrolled: 1-line block ×4, first 2 shown]
	v_fma_f16 v21, v21, v31, -v108
	v_fma_f16 v43, v44, v32, -v111
	v_add_f16_e32 v44, v22, v52
	v_add_f16_e32 v55, v69, v70
	v_sub_f16_e32 v56, v69, v70
	v_add_f16_e32 v57, v54, v69
	v_add_f16_e32 v62, v104, v102
	;; [unrolled: 1-line block ×9, first 2 shown]
	v_sub_f16_e32 v64, v104, v102
	v_add_f16_e32 v104, v109, v112
	v_add_f16_e32 v105, v65, v109
	v_sub_f16_e32 v106, v109, v112
	v_add_f16_e32 v108, v39, v40
	v_add_f16_e32 v109, v45, v39
	v_add_f16_e32 v110, v66, v107
	v_add_f16_e32 v111, v107, v113
	v_add_f16_e32 v53, v35, v22
	v_sub_f16_e32 v38, v38, v37
	v_sub_f16_e32 v23, v23, v36
	;; [unrolled: 1-line block ×3, first 2 shown]
	v_add_f16_e32 v100, v21, v43
	v_fmac_f16_e32 v35, -0.5, v44
	v_fmac_f16_e32 v59, -0.5, v62
	v_fma_f16 v41, -0.5, v67, v41
	v_add_f16_e32 v36, v68, v36
	v_add_f16_e32 v44, v69, v103
	v_fmac_f16_e32 v60, -0.5, v98
	v_sub_f16_e32 v22, v22, v52
	v_fmac_f16_e32 v54, -0.5, v55
	v_fmac_f16_e32 v42, -0.5, v58
	v_add_f16_e32 v101, v46, v21
	v_sub_f16_e32 v21, v21, v43
	v_sub_f16_e32 v39, v39, v40
	;; [unrolled: 1-line block ×3, first 2 shown]
	v_add_f16_e32 v37, v61, v37
	v_add_f16_e32 v55, v63, v102
	v_fmac_f16_e32 v65, -0.5, v104
	v_fma_f16 v45, -0.5, v108, v45
	v_add_f16_e32 v40, v109, v40
	v_add_f16_e32 v58, v110, v113
	v_fmac_f16_e32 v66, -0.5, v111
	v_fmac_f16_e32 v46, -0.5, v100
	v_fmamk_f16 v62, v38, 0xbaee, v59
	v_fmac_f16_e32 v59, 0x3aee, v38
	v_pack_b32_f16 v36, v36, v44
	v_fmamk_f16 v38, v99, 0x3aee, v41
	v_fmamk_f16 v44, v23, 0xbaee, v60
	v_fmac_f16_e32 v41, 0xbaee, v99
	v_fmac_f16_e32 v60, 0x3aee, v23
	v_add_f16_e32 v52, v53, v52
	v_add_f16_e32 v53, v57, v70
	v_fmamk_f16 v57, v56, 0x3aee, v35
	v_fmac_f16_e32 v35, 0xbaee, v56
	v_fmamk_f16 v56, v22, 0xbaee, v54
	v_fmac_f16_e32 v54, 0x3aee, v22
	;; [unrolled: 2-line block ×3, first 2 shown]
	v_pack_b32_f16 v23, v37, v55
	v_fmamk_f16 v55, v21, 0xbaee, v65
	v_fmac_f16_e32 v65, 0x3aee, v21
	v_pack_b32_f16 v21, v40, v58
	v_fmamk_f16 v40, v107, 0x3aee, v45
	v_fmamk_f16 v58, v39, 0xbaee, v66
	v_add_f16_e32 v43, v101, v43
	v_add_f16_e32 v61, v105, v112
	v_fmamk_f16 v37, v106, 0x3aee, v46
	v_fmac_f16_e32 v46, 0xbaee, v106
	v_fmac_f16_e32 v45, 0xbaee, v107
	;; [unrolled: 1-line block ×3, first 2 shown]
	v_pack_b32_f16 v38, v38, v44
	v_pack_b32_f16 v41, v41, v60
	;; [unrolled: 1-line block ×12, first 2 shown]
	ds_write2_b32 v93, v36, v38 offset1:3
	ds_write_b32 v93, v41 offset:24
	ds_write2_b32 v97, v23, v22 offset1:3
	ds_write_b32 v97, v42 offset:24
	;; [unrolled: 2-line block ×5, first 2 shown]
	v_and_b32_e32 v21, 0xff, v50
	v_lshlrev_b32_e32 v23, 3, v9
	v_and_b32_e32 v22, 0xff, v49
	s_waitcnt lgkmcnt(0)
	s_barrier
	v_lshlrev_b32_e32 v41, 3, v21
	buffer_gl0_inv
	s_clause 0x1
	global_load_dwordx2 v[37:38], v51, s[14:15] offset:24
	global_load_dwordx2 v[39:40], v23, s[14:15] offset:24
	v_lshlrev_b32_e32 v23, 3, v22
	s_clause 0x2
	global_load_dwordx2 v[35:36], v[47:48], off offset:24
	global_load_dwordx2 v[43:44], v41, s[14:15] offset:24
	global_load_dwordx2 v[41:42], v23, s[14:15] offset:24
	v_lshrrev_b16 v23, 9, v5
	v_mul_lo_u16 v5, v13, 27
	v_lshrrev_b16 v52, 9, v7
	v_lshrrev_b16 v51, 9, v6
	v_mov_b32_e32 v45, 27
	v_mul_lo_u16 v13, v23, 27
	v_and_b32_e32 v5, 0xff, v5
	v_lshlrev_b32_sdwa v101, v0, v10 dst_sel:DWORD dst_unused:UNUSED_PAD src0_sel:DWORD src1_sel:WORD_0
	v_mul_lo_u16 v47, v51, 27
	v_mul_u32_u24_sdwa v50, v12, v45 dst_sel:DWORD dst_unused:UNUSED_PAD src0_sel:WORD_0 src1_sel:DWORD
	v_sub_nc_u16 v6, v2, v13
	v_mul_lo_u16 v13, v52, 27
	v_add_lshl_u32 v102, v5, v11, 2
	v_mul_u32_u24_sdwa v49, v14, v45 dst_sel:DWORD dst_unused:UNUSED_PAD src0_sel:WORD_0 src1_sel:DWORD
	v_mul_u32_u24_sdwa v15, v15, v45 dst_sel:DWORD dst_unused:UNUSED_PAD src0_sel:WORD_0 src1_sel:DWORD
	v_and_b32_e32 v55, 0xff, v6
	v_sub_nc_u16 v48, v3, v13
	ds_read_b32 v53, v71 offset:3528
	ds_read2_b32 v[5:6], v17 offset0:120 offset1:183
	ds_read2_b32 v[11:12], v1 offset0:124 offset1:187
	;; [unrolled: 1-line block ×4, first 2 shown]
	ds_read2_b32 v[45:46], v71 offset1:63
	v_sub_nc_u16 v54, v4, v47
	v_and_b32_e32 v56, 0xff, v48
	ds_read2_b32 v[47:48], v16 offset0:116 offset1:179
	v_add_lshl_u32 v105, v49, v9, 2
	ds_read2_b32 v[9:10], v71 offset0:126 offset1:189
	v_add_lshl_u32 v104, v15, v21, 2
	v_add_lshl_u32 v103, v50, v22, 2
	v_lshlrev_b32_e32 v0, 4, v56
	s_waitcnt vmcnt(0) lgkmcnt(0)
	s_barrier
	buffer_gl0_inv
	v_lshrrev_b32_e32 v4, 16, v53
	v_lshrrev_b32_e32 v15, 16, v6
	v_lshrrev_b32_e32 v22, 16, v12
	v_lshrrev_b32_e32 v49, 16, v7
	v_lshrrev_b32_e32 v50, 16, v8
	v_lshrrev_b32_e32 v57, 16, v13
	v_lshrrev_b32_e32 v60, 16, v14
	v_lshrrev_b32_e32 v62, 16, v47
	v_lshrrev_b32_e32 v61, 16, v5
	v_lshrrev_b32_e32 v63, 16, v48
	v_lshrrev_b32_e32 v21, 16, v11
	v_lshrrev_b32_e32 v59, 16, v45
	v_lshrrev_b32_e32 v58, 16, v46
	v_lshrrev_b32_e32 v64, 16, v10
	v_lshrrev_b32_e32 v65, 16, v9
	v_mul_f16_sdwa v70, v22, v37 dst_sel:DWORD dst_unused:UNUSED_PAD src0_sel:DWORD src1_sel:WORD_1
	v_mul_f16_sdwa v98, v12, v37 dst_sel:DWORD dst_unused:UNUSED_PAD src0_sel:DWORD src1_sel:WORD_1
	;; [unrolled: 1-line block ×20, first 2 shown]
	v_fma_f16 v53, v53, v36, -v66
	v_fmac_f16_e32 v67, v4, v36
	v_fmac_f16_e32 v68, v15, v35
	v_fma_f16 v4, v6, v35, -v69
	v_fma_f16 v6, v12, v37, -v70
	;; [unrolled: 1-line block ×3, first 2 shown]
	v_fmac_f16_e32 v106, v50, v40
	v_fmac_f16_e32 v108, v57, v39
	;; [unrolled: 1-line block ×4, first 2 shown]
	v_fma_f16 v8, v8, v40, -v100
	v_fma_f16 v12, v13, v39, -v109
	;; [unrolled: 1-line block ×4, first 2 shown]
	v_fmac_f16_e32 v113, v61, v41
	v_fmac_f16_e32 v116, v63, v42
	;; [unrolled: 1-line block ×4, first 2 shown]
	v_fma_f16 v5, v5, v41, -v112
	v_fma_f16 v15, v48, v42, -v115
	v_add_f16_e32 v22, v4, v53
	v_add_f16_e32 v48, v68, v67
	;; [unrolled: 1-line block ×3, first 2 shown]
	v_sub_f16_e32 v50, v68, v67
	v_add_f16_e32 v61, v108, v106
	v_add_f16_e32 v66, v6, v7
	;; [unrolled: 1-line block ×8, first 2 shown]
	v_sub_f16_e32 v63, v108, v106
	v_add_f16_e32 v108, v113, v116
	v_add_f16_e32 v109, v64, v113
	v_sub_f16_e32 v110, v113, v116
	v_add_f16_e32 v112, v13, v14
	v_add_f16_e32 v113, v9, v13
	;; [unrolled: 1-line block ×5, first 2 shown]
	v_sub_f16_e32 v12, v12, v8
	v_sub_f16_e32 v6, v6, v7
	;; [unrolled: 1-line block ×3, first 2 shown]
	v_add_f16_e32 v99, v5, v15
	v_fmac_f16_e32 v11, -0.5, v22
	v_fmac_f16_e32 v58, -0.5, v61
	v_fma_f16 v22, -0.5, v66, v45
	v_add_f16_e32 v7, v68, v7
	v_add_f16_e32 v45, v69, v107
	v_fmac_f16_e32 v59, -0.5, v70
	v_add_f16_e32 v100, v10, v5
	v_sub_f16_e32 v5, v5, v15
	v_sub_f16_e32 v13, v13, v14
	;; [unrolled: 1-line block ×3, first 2 shown]
	v_fmac_f16_e32 v21, -0.5, v48
	v_fmac_f16_e32 v46, -0.5, v57
	v_add_f16_e32 v8, v60, v8
	v_add_f16_e32 v48, v62, v106
	v_fmac_f16_e32 v64, -0.5, v108
	v_fma_f16 v9, -0.5, v112, v9
	v_add_f16_e32 v14, v113, v14
	v_add_f16_e32 v57, v114, v117
	v_fmac_f16_e32 v65, -0.5, v115
	v_sub_f16_e32 v4, v4, v53
	v_fmac_f16_e32 v10, -0.5, v99
	v_fmamk_f16 v61, v12, 0xbaee, v58
	v_fmac_f16_e32 v58, 0x3aee, v12
	v_pack_b32_f16 v7, v7, v45
	v_fmamk_f16 v12, v98, 0x3aee, v22
	v_fmamk_f16 v45, v6, 0xbaee, v59
	v_fmac_f16_e32 v22, 0xbaee, v98
	v_fmac_f16_e32 v59, 0x3aee, v6
	v_pack_b32_f16 v6, v8, v48
	v_fmamk_f16 v48, v5, 0xbaee, v64
	v_fmac_f16_e32 v64, 0x3aee, v5
	v_pack_b32_f16 v5, v14, v57
	v_fmamk_f16 v14, v111, 0x3aee, v9
	v_fmamk_f16 v57, v13, 0xbaee, v65
	v_add_f16_e32 v47, v47, v53
	v_fmamk_f16 v53, v50, 0x3aee, v11
	v_fmac_f16_e32 v11, 0xbaee, v50
	v_fmamk_f16 v50, v4, 0xbaee, v21
	v_fmac_f16_e32 v21, 0x3aee, v4
	;; [unrolled: 2-line block ×3, first 2 shown]
	v_add_f16_e32 v15, v100, v15
	v_add_f16_e32 v60, v109, v116
	;; [unrolled: 1-line block ×3, first 2 shown]
	v_fmamk_f16 v8, v110, 0x3aee, v10
	v_fmac_f16_e32 v10, 0xbaee, v110
	v_fmac_f16_e32 v9, 0xbaee, v111
	v_fmac_f16_e32 v65, 0x3aee, v13
	v_pack_b32_f16 v12, v12, v45
	v_pack_b32_f16 v22, v22, v59
	;; [unrolled: 1-line block ×3, first 2 shown]
	v_and_b32_e32 v57, 0xff, v54
	v_pack_b32_f16 v4, v4, v61
	v_pack_b32_f16 v11, v11, v21
	;; [unrolled: 1-line block ×9, first 2 shown]
	ds_write2_b32 v102, v7, v12 offset1:9
	ds_write_b32 v102, v22 offset:72
	ds_write2_b32 v105, v6, v4 offset1:9
	ds_write_b32 v105, v21 offset:72
	;; [unrolled: 2-line block ×5, first 2 shown]
	s_waitcnt lgkmcnt(0)
	s_barrier
	buffer_gl0_inv
	global_load_dwordx4 v[4:7], v0, s[14:15] offset:96
	v_lshlrev_b32_e32 v0, 4, v55
	v_lshlrev_b32_e32 v8, 4, v57
	s_clause 0x1
	global_load_dwordx4 v[12:15], v0, s[14:15] offset:96
	global_load_dwordx4 v[8:11], v8, s[14:15] offset:96
	v_mov_b32_e32 v53, 0x87
	ds_read_b32 v58, v71 offset:3528
	ds_read2_b32 v[21:22], v17 offset0:120 offset1:183
	ds_read2_b32 v[45:46], v18 offset0:118 offset1:181
	;; [unrolled: 1-line block ×5, first 2 shown]
	v_mul_u32_u24_sdwa v59, v51, v53 dst_sel:DWORD dst_unused:UNUSED_PAD src0_sel:WORD_0 src1_sel:DWORD
	v_mul_u32_u24_sdwa v60, v52, v53 dst_sel:DWORD dst_unused:UNUSED_PAD src0_sel:WORD_0 src1_sel:DWORD
	ds_read2_b32 v[51:52], v16 offset0:116 offset1:179
	v_mul_u32_u24_sdwa v23, v23, v53 dst_sel:DWORD dst_unused:UNUSED_PAD src0_sel:WORD_0 src1_sel:DWORD
	ds_read2_b32 v[53:54], v71 offset1:63
	v_add_lshl_u32 v99, v59, v57, 2
	v_add_lshl_u32 v98, v60, v56, 2
	s_waitcnt vmcnt(0) lgkmcnt(0)
	v_add_lshl_u32 v100, v23, v55, 2
	s_barrier
	buffer_gl0_inv
	v_lshrrev_b32_e32 v23, 16, v58
	v_lshrrev_b32_e32 v55, 16, v21
	;; [unrolled: 1-line block ×15, first 2 shown]
	v_mul_f16_sdwa v70, v23, v7 dst_sel:DWORD dst_unused:UNUSED_PAD src0_sel:DWORD src1_sel:WORD_1
	v_mul_f16_sdwa v107, v58, v7 dst_sel:DWORD dst_unused:UNUSED_PAD src0_sel:DWORD src1_sel:WORD_1
	;; [unrolled: 1-line block ×24, first 2 shown]
	v_fma_f16 v58, v58, v7, -v70
	v_fmac_f16_e32 v107, v23, v7
	v_fmac_f16_e32 v108, v55, v5
	;; [unrolled: 1-line block ×4, first 2 shown]
	v_fma_f16 v21, v21, v5, -v106
	v_fma_f16 v23, v46, v6, -v110
	;; [unrolled: 1-line block ×10, first 2 shown]
	v_fmac_f16_e32 v114, v60, v12
	v_fmac_f16_e32 v121, v63, v13
	;; [unrolled: 1-line block ×3, first 2 shown]
	v_fma_f16 v50, v51, v15, -v125
	v_fmac_f16_e32 v127, v66, v15
	v_fmac_f16_e32 v118, v62, v8
	;; [unrolled: 1-line block ×5, first 2 shown]
	v_add_f16_e32 v51, v21, v23
	v_add_f16_e32 v55, v46, v58
	v_sub_f16_e32 v57, v21, v46
	v_sub_f16_e32 v60, v23, v58
	v_add_f16_e32 v61, v108, v109
	v_sub_f16_e32 v64, v108, v111
	v_sub_f16_e32 v65, v109, v107
	;; [unrolled: 1-line block ×4, first 2 shown]
	v_add_f16_e32 v134, v48, v22
	v_add_f16_e32 v136, v53, v1
	;; [unrolled: 1-line block ×5, first 2 shown]
	v_sub_f16_e32 v139, v114, v121
	v_sub_f16_e32 v143, v114, v127
	;; [unrolled: 1-line block ×3, first 2 shown]
	v_add_f16_e32 v114, v114, v127
	v_add_f16_e32 v62, v111, v107
	;; [unrolled: 1-line block ×10, first 2 shown]
	v_sub_f16_e32 v137, v1, v48
	v_sub_f16_e32 v145, v1, v50
	;; [unrolled: 1-line block ×4, first 2 shown]
	v_fma_f16 v51, -0.5, v51, v0
	v_fmac_f16_e32 v0, -0.5, v55
	v_add_f16_e32 v55, v57, v60
	v_fma_f16 v106, -0.5, v61, v59
	v_add_f16_e32 v57, v64, v65
	v_add_f16_e32 v61, v117, v119
	v_fma_f16 v65, -0.5, v134, v53
	v_add_f16_e32 v48, v136, v48
	v_add_f16_e32 v117, v141, v121
	v_fma_f16 v119, -0.5, v142, v69
	v_sub_f16_e32 v144, v121, v116
	v_fma_f16 v53, -0.5, v135, v53
	v_fmac_f16_e32 v69, -0.5, v114
	v_sub_f16_e32 v131, v49, v45
	v_sub_f16_e32 v132, v118, v128
	;; [unrolled: 1-line block ×4, first 2 shown]
	v_fmac_f16_e32 v59, -0.5, v62
	v_fma_f16 v60, -0.5, v112, v54
	v_fma_f16 v62, -0.5, v120, v68
	v_add_f16_e32 v49, v115, v49
	v_add_f16_e32 v115, v125, v122
	v_sub_f16_e32 v66, v108, v109
	v_sub_f16_e32 v67, v21, v23
	;; [unrolled: 1-line block ×8, first 2 shown]
	v_fmac_f16_e32 v54, -0.5, v113
	v_fmac_f16_e32 v68, -0.5, v123
	v_add_f16_e32 v21, v56, v21
	v_add_f16_e32 v56, v63, v108
	v_sub_f16_e32 v138, v50, v22
	v_sub_f16_e32 v140, v127, v116
	;; [unrolled: 1-line block ×4, first 2 shown]
	v_add_f16_e32 v22, v48, v22
	v_add_f16_e32 v48, v117, v116
	v_fmamk_f16 v116, v143, 0x3b9c, v65
	v_fmamk_f16 v117, v145, 0xbb9c, v119
	v_sub_f16_e32 v126, v122, v118
	v_sub_f16_e32 v118, v118, v122
	v_fmamk_f16 v122, v144, 0xbb9c, v53
	v_fmac_f16_e32 v53, 0x3b9c, v144
	v_fmamk_f16 v123, v146, 0x3b9c, v69
	v_fmac_f16_e32 v69, 0xbb9c, v146
	v_fmac_f16_e32 v65, 0xbb9c, v143
	;; [unrolled: 1-line block ×3, first 2 shown]
	v_sub_f16_e32 v129, v124, v128
	v_sub_f16_e32 v150, v52, v45
	;; [unrolled: 1-line block ×3, first 2 shown]
	v_add_f16_e32 v45, v49, v45
	v_add_f16_e32 v49, v115, v124
	v_fmamk_f16 v115, v132, 0x3b9c, v60
	v_fmamk_f16 v124, v133, 0xbb9c, v62
	v_sub_f16_e32 v152, v58, v23
	v_add_f16_e32 v63, v111, v153
	v_fmamk_f16 v108, v66, 0xbb9c, v0
	v_fmamk_f16 v111, v67, 0x3b9c, v59
	;; [unrolled: 1-line block ×3, first 2 shown]
	v_fmac_f16_e32 v54, 0x3b9c, v130
	v_fmamk_f16 v121, v131, 0x3b9c, v68
	v_fmac_f16_e32 v68, 0xbb9c, v131
	v_add_f16_e32 v21, v21, v23
	v_add_f16_e32 v23, v56, v109
	v_fmamk_f16 v56, v70, 0x3b9c, v51
	v_fmamk_f16 v109, v110, 0xbb9c, v106
	v_add_f16_e32 v112, v137, v138
	v_add_f16_e32 v113, v139, v140
	v_fmac_f16_e32 v0, 0x3b9c, v66
	v_fmac_f16_e32 v59, 0xbb9c, v67
	;; [unrolled: 1-line block ×8, first 2 shown]
	v_add_f16_e32 v1, v1, v147
	v_add_f16_e32 v114, v148, v149
	v_fmac_f16_e32 v122, 0x38b4, v143
	v_fmac_f16_e32 v53, 0xb8b4, v143
	;; [unrolled: 1-line block ×6, first 2 shown]
	v_add_f16_e32 v47, v47, v150
	v_add_f16_e32 v118, v118, v151
	v_fmac_f16_e32 v115, 0x38b4, v130
	v_fmac_f16_e32 v124, 0xb8b4, v131
	v_add_f16_e32 v64, v126, v129
	v_add_f16_e32 v46, v46, v152
	v_fmac_f16_e32 v54, 0xb8b4, v132
	v_fmac_f16_e32 v68, 0x38b4, v133
	;; [unrolled: 1-line block ×10, first 2 shown]
	v_add_f16_e32 v22, v22, v50
	v_add_f16_e32 v48, v48, v127
	;; [unrolled: 1-line block ×4, first 2 shown]
	v_fmac_f16_e32 v60, 0xb8b4, v130
	v_fmac_f16_e32 v62, 0x38b4, v131
	;; [unrolled: 1-line block ×14, first 2 shown]
	v_add_f16_e32 v21, v21, v58
	v_add_f16_e32 v23, v23, v107
	v_fmac_f16_e32 v54, 0x34f2, v61
	v_fmac_f16_e32 v68, 0x34f2, v64
	;; [unrolled: 1-line block ×10, first 2 shown]
	v_pack_b32_f16 v22, v22, v48
	v_pack_b32_f16 v1, v45, v49
	v_fmac_f16_e32 v60, 0x34f2, v47
	v_fmac_f16_e32 v62, 0x34f2, v118
	v_fmac_f16_e32 v51, 0x34f2, v46
	v_fmac_f16_e32 v106, 0x34f2, v63
	v_pack_b32_f16 v45, v116, v117
	v_pack_b32_f16 v46, v122, v123
	;; [unrolled: 1-line block ×13, first 2 shown]
	ds_write2_b32 v100, v22, v45 offset1:27
	ds_write2_b32 v100, v46, v47 offset0:54 offset1:81
	ds_write_b32 v100, v48 offset:432
	ds_write2_b32 v99, v1, v49 offset1:27
	ds_write2_b32 v99, v50, v23 offset0:54 offset1:81
	ds_write_b32 v99, v52 offset:432
	;; [unrolled: 3-line block ×3, first 2 shown]
	s_waitcnt lgkmcnt(0)
	s_barrier
	buffer_gl0_inv
	ds_read2_b32 v[67:68], v19 offset0:14 offset1:77
	ds_read2_b32 v[65:66], v19 offset0:149 offset1:212
	;; [unrolled: 1-line block ×5, first 2 shown]
	ds_read2_b32 v[53:54], v71 offset1:63
	ds_read2_b32 v[69:70], v71 offset0:135 offset1:198
                                        ; implicit-def: $vgpr109
                                        ; implicit-def: $vgpr108
                                        ; implicit-def: $vgpr107
                                        ; implicit-def: $vgpr110
                                        ; implicit-def: $vgpr111
                                        ; implicit-def: $vgpr112
                                        ; implicit-def: $vgpr113
                                        ; implicit-def: $vgpr56
                                        ; implicit-def: $vgpr58
	s_and_saveexec_b32 s0, vcc_lo
	s_cbranch_execz .LBB0_3
; %bb.2:
	v_add_nc_u32_e32 v0, 0x100, v71
	ds_read2_b32 v[55:56], v17 offset0:12 offset1:147
	ds_read2_b32 v[57:58], v16 offset0:26 offset1:161
	;; [unrolled: 1-line block ×3, first 2 shown]
	ds_read_b32 v107, v71 offset:3744
	s_waitcnt lgkmcnt(3)
	v_lshrrev_b32_e32 v112, 16, v55
	v_lshrrev_b32_e32 v109, 16, v56
	s_waitcnt lgkmcnt(2)
	v_lshrrev_b32_e32 v111, 16, v57
	v_lshrrev_b32_e32 v108, 16, v58
	;; [unrolled: 3-line block ×3, first 2 shown]
	s_waitcnt lgkmcnt(0)
	v_lshrrev_b32_e32 v110, 16, v107
.LBB0_3:
	s_or_b32 exec_lo, exec_lo, s0
	v_mad_u64_u32 v[0:1], null, v85, 24, s[14:15]
	s_waitcnt lgkmcnt(0)
	v_lshrrev_b32_e32 v114, 16, v69
	v_lshrrev_b32_e32 v115, 16, v67
	;; [unrolled: 1-line block ×6, first 2 shown]
	s_clause 0x2
	global_load_dwordx4 v[20:23], v[0:1], off offset:528
	global_load_dwordx2 v[47:48], v[0:1], off offset:544
	global_load_dwordx4 v[16:19], v[0:1], off offset:2040
	v_add_co_u32 v0, s0, 0x800, v0
	v_add_co_ci_u32_e64 v1, s0, 0, v1, s0
	v_lshrrev_b32_e32 v120, 16, v70
	v_lshrrev_b32_e32 v121, 16, v68
	;; [unrolled: 1-line block ×3, first 2 shown]
	global_load_dwordx2 v[49:50], v[0:1], off offset:8
	v_add_nc_u32_e32 v0, -9, v85
	v_lshrrev_b32_e32 v123, 16, v64
	v_lshrrev_b32_e32 v124, 16, v62
	;; [unrolled: 1-line block ×3, first 2 shown]
	v_cndmask_b32_e32 v0, v0, v3, vcc_lo
	v_mul_i32_i24_e32 v1, 24, v0
	v_mul_hi_i32_i24_e32 v0, 24, v0
	v_add_co_u32 v45, s0, s14, v1
	v_add_co_ci_u32_e64 v46, s0, s15, v0, s0
	s_clause 0x1
	global_load_dwordx4 v[0:3], v[45:46], off offset:528
	global_load_dwordx2 v[45:46], v[45:46], off offset:544
	s_waitcnt vmcnt(5)
	v_mul_f16_sdwa v126, v114, v20 dst_sel:DWORD dst_unused:UNUSED_PAD src0_sel:DWORD src1_sel:WORD_1
	v_mul_f16_sdwa v127, v69, v20 dst_sel:DWORD dst_unused:UNUSED_PAD src0_sel:DWORD src1_sel:WORD_1
	;; [unrolled: 1-line block ×8, first 2 shown]
	s_waitcnt vmcnt(4)
	v_mul_f16_sdwa v134, v118, v47 dst_sel:DWORD dst_unused:UNUSED_PAD src0_sel:DWORD src1_sel:WORD_1
	v_mul_f16_sdwa v135, v61, v47 dst_sel:DWORD dst_unused:UNUSED_PAD src0_sel:DWORD src1_sel:WORD_1
	;; [unrolled: 1-line block ×4, first 2 shown]
	s_waitcnt vmcnt(3)
	v_mul_f16_sdwa v138, v120, v16 dst_sel:DWORD dst_unused:UNUSED_PAD src0_sel:DWORD src1_sel:WORD_1
	v_mul_f16_sdwa v139, v70, v16 dst_sel:DWORD dst_unused:UNUSED_PAD src0_sel:DWORD src1_sel:WORD_1
	v_mul_f16_sdwa v140, v121, v17 dst_sel:DWORD dst_unused:UNUSED_PAD src0_sel:DWORD src1_sel:WORD_1
	v_mul_f16_sdwa v141, v68, v17 dst_sel:DWORD dst_unused:UNUSED_PAD src0_sel:DWORD src1_sel:WORD_1
	v_mul_f16_sdwa v142, v122, v18 dst_sel:DWORD dst_unused:UNUSED_PAD src0_sel:DWORD src1_sel:WORD_1
	v_mul_f16_sdwa v143, v66, v18 dst_sel:DWORD dst_unused:UNUSED_PAD src0_sel:DWORD src1_sel:WORD_1
	v_mul_f16_sdwa v144, v123, v19 dst_sel:DWORD dst_unused:UNUSED_PAD src0_sel:DWORD src1_sel:WORD_1
	v_mul_f16_sdwa v145, v64, v19 dst_sel:DWORD dst_unused:UNUSED_PAD src0_sel:DWORD src1_sel:WORD_1
	v_fma_f16 v69, v69, v20, -v126
	v_fmac_f16_e32 v127, v114, v20
	v_fma_f16 v67, v67, v21, -v128
	v_fmac_f16_e32 v129, v115, v21
	;; [unrolled: 2-line block ×6, first 2 shown]
	s_waitcnt vmcnt(2)
	v_mul_f16_sdwa v114, v124, v49 dst_sel:DWORD dst_unused:UNUSED_PAD src0_sel:DWORD src1_sel:WORD_1
	v_mul_f16_sdwa v115, v62, v49 dst_sel:DWORD dst_unused:UNUSED_PAD src0_sel:DWORD src1_sel:WORD_1
	;; [unrolled: 1-line block ×4, first 2 shown]
	v_fma_f16 v70, v70, v16, -v138
	v_fmac_f16_e32 v139, v120, v16
	v_fma_f16 v68, v68, v17, -v140
	v_fmac_f16_e32 v141, v121, v17
	v_fma_f16 v66, v66, v18, -v142
	v_fmac_f16_e32 v143, v122, v18
	v_fma_f16 v64, v64, v19, -v144
	v_fmac_f16_e32 v145, v123, v19
	v_add_f16_e32 v118, v69, v59
	v_add_f16_e32 v119, v127, v137
	v_sub_f16_e32 v59, v69, v59
	v_sub_f16_e32 v69, v127, v137
	v_add_f16_e32 v120, v67, v61
	v_add_f16_e32 v121, v129, v135
	v_sub_f16_e32 v61, v67, v61
	v_sub_f16_e32 v67, v129, v135
	;; [unrolled: 4-line block ×3, first 2 shown]
	v_fma_f16 v62, v62, v49, -v114
	v_fmac_f16_e32 v115, v124, v49
	v_fma_f16 v60, v60, v50, -v116
	v_fmac_f16_e32 v117, v125, v50
	s_waitcnt vmcnt(1)
	v_mul_f16_sdwa v114, v113, v0 dst_sel:DWORD dst_unused:UNUSED_PAD src0_sel:DWORD src1_sel:WORD_1
	v_mul_f16_sdwa v116, v52, v0 dst_sel:DWORD dst_unused:UNUSED_PAD src0_sel:DWORD src1_sel:WORD_1
	;; [unrolled: 1-line block ×4, first 2 shown]
	s_waitcnt vmcnt(0)
	v_mul_f16_sdwa v132, v108, v45 dst_sel:DWORD dst_unused:UNUSED_PAD src0_sel:DWORD src1_sel:WORD_1
	v_mul_f16_sdwa v133, v58, v45 dst_sel:DWORD dst_unused:UNUSED_PAD src0_sel:DWORD src1_sel:WORD_1
	;; [unrolled: 1-line block ×4, first 2 shown]
	v_add_f16_e32 v126, v66, v64
	v_add_f16_e32 v127, v143, v145
	v_sub_f16_e32 v64, v64, v66
	v_sub_f16_e32 v66, v145, v143
	v_mul_f16_sdwa v128, v109, v2 dst_sel:DWORD dst_unused:UNUSED_PAD src0_sel:DWORD src1_sel:WORD_1
	v_mul_f16_sdwa v129, v56, v2 dst_sel:DWORD dst_unused:UNUSED_PAD src0_sel:DWORD src1_sel:WORD_1
	;; [unrolled: 1-line block ×4, first 2 shown]
	v_add_f16_e32 v136, v120, v118
	v_add_f16_e32 v137, v121, v119
	v_sub_f16_e32 v138, v120, v118
	v_sub_f16_e32 v140, v121, v119
	;; [unrolled: 1-line block ×5, first 2 shown]
	v_add_f16_e32 v142, v63, v61
	v_add_f16_e32 v143, v65, v67
	v_sub_f16_e32 v144, v63, v61
	v_sub_f16_e32 v145, v65, v67
	;; [unrolled: 1-line block ×4, first 2 shown]
	v_add_f16_e32 v146, v70, v60
	v_add_f16_e32 v147, v139, v117
	v_sub_f16_e32 v60, v70, v60
	v_sub_f16_e32 v70, v139, v117
	v_add_f16_e32 v117, v68, v62
	v_add_f16_e32 v139, v141, v115
	v_sub_f16_e32 v62, v68, v62
	v_sub_f16_e32 v68, v141, v115
	v_fma_f16 v52, v52, v0, -v114
	v_fmac_f16_e32 v116, v113, v0
	v_fma_f16 v55, v55, v1, -v124
	v_fmac_f16_e32 v125, v112, v1
	v_fma_f16 v58, v58, v45, -v132
	v_fmac_f16_e32 v133, v108, v45
	v_fma_f16 v107, v107, v46, -v134
	v_fmac_f16_e32 v135, v110, v46
	v_sub_f16_e32 v121, v123, v121
	v_sub_f16_e32 v63, v59, v63
	v_sub_f16_e32 v65, v69, v65
	v_fma_f16 v56, v56, v2, -v128
	v_fmac_f16_e32 v129, v109, v2
	v_fma_f16 v57, v57, v3, -v130
	v_fmac_f16_e32 v131, v111, v3
	v_add_f16_e32 v108, v122, v136
	v_add_f16_e32 v109, v123, v137
	;; [unrolled: 1-line block ×4, first 2 shown]
	v_mul_f16_e32 v110, 0x3a52, v118
	v_mul_f16_e32 v111, 0x3a52, v119
	;; [unrolled: 1-line block ×7, first 2 shown]
	v_add_f16_e32 v122, v117, v146
	v_add_f16_e32 v123, v139, v147
	v_sub_f16_e32 v130, v146, v126
	v_sub_f16_e32 v132, v147, v127
	;; [unrolled: 1-line block ×3, first 2 shown]
	v_add_f16_e32 v136, v64, v62
	v_add_f16_e32 v137, v66, v68
	v_sub_f16_e32 v141, v66, v68
	v_add_f16_e32 v142, v52, v107
	v_add_f16_e32 v143, v116, v135
	v_sub_f16_e32 v52, v52, v107
	v_sub_f16_e32 v107, v116, v135
	v_add_f16_e32 v116, v55, v58
	v_add_f16_e32 v135, v125, v133
	v_mul_f16_e32 v113, 0x2b26, v121
	v_sub_f16_e32 v124, v117, v146
	v_sub_f16_e32 v128, v139, v147
	;; [unrolled: 1-line block ×10, first 2 shown]
	v_add_f16_e32 v125, v56, v57
	v_add_f16_e32 v133, v129, v131
	v_sub_f16_e32 v56, v57, v56
	v_sub_f16_e32 v57, v131, v129
	v_add_f16_e32 v129, v53, v108
	v_add_f16_sdwa v53, v53, v109 dst_sel:DWORD dst_unused:UNUSED_PAD src0_sel:WORD_1 src1_sel:DWORD
	v_fmamk_f16 v120, v120, 0x2b26, v110
	v_fma_f16 v112, v138, 0x39e0, -v112
	v_fma_f16 v110, v138, 0xb9e0, -v110
	v_fmamk_f16 v131, v63, 0x3574, v114
	v_fmamk_f16 v138, v65, 0x3574, v115
	v_fma_f16 v61, v61, 0x3b00, -v114
	v_fma_f16 v67, v67, 0x3b00, -v115
	v_fma_f16 v63, v63, 0xb574, -v118
	v_fma_f16 v65, v65, 0xb574, -v119
	v_add_f16_e32 v114, v126, v122
	v_add_f16_e32 v115, v127, v123
	;; [unrolled: 1-line block ×4, first 2 shown]
	v_mul_f16_e32 v118, 0x3a52, v130
	v_mul_f16_e32 v119, 0x3a52, v132
	;; [unrolled: 1-line block ×4, first 2 shown]
	v_add_f16_e32 v136, v116, v142
	v_add_f16_e32 v137, v135, v143
	v_fmamk_f16 v121, v121, 0x2b26, v111
	v_fma_f16 v113, v140, 0x39e0, -v113
	v_fma_f16 v111, v140, 0xb9e0, -v111
	v_mul_f16_e32 v122, 0x2b26, v117
	v_mul_f16_e32 v126, 0xb846, v139
	;; [unrolled: 1-line block ×4, first 2 shown]
	v_sub_f16_e32 v139, v116, v142
	v_sub_f16_e32 v140, v135, v143
	;; [unrolled: 1-line block ×6, first 2 shown]
	v_add_f16_e32 v143, v56, v55
	v_add_f16_e32 v144, v57, v58
	v_sub_f16_e32 v145, v56, v55
	v_sub_f16_e32 v146, v57, v58
	;; [unrolled: 1-line block ×4, first 2 shown]
	v_fmamk_f16 v108, v108, 0xbcab, v129
	v_fmamk_f16 v109, v109, 0xbcab, v53
	v_fmac_f16_e32 v131, 0x370e, v59
	v_fmac_f16_e32 v138, 0x370e, v69
	v_fmac_f16_e32 v61, 0x370e, v59
	v_fmac_f16_e32 v67, 0x370e, v69
	v_fmac_f16_e32 v63, 0x370e, v59
	v_fmac_f16_e32 v65, 0x370e, v69
	v_add_f16_e32 v59, v54, v114
	v_add_f16_sdwa v54, v54, v115 dst_sel:DWORD dst_unused:UNUSED_PAD src0_sel:WORD_1 src1_sel:DWORD
	v_fmamk_f16 v69, v117, 0x2b26, v118
	v_fmamk_f16 v117, v134, 0x2b26, v119
	v_fma_f16 v123, v128, 0x39e0, -v123
	v_fma_f16 v119, v128, 0xb9e0, -v119
	v_fmamk_f16 v128, v66, 0x3574, v127
	v_fma_f16 v68, v68, 0x3b00, -v127
	v_add_f16_e32 v125, v125, v136
	v_add_f16_e32 v127, v133, v137
	v_sub_f16_e32 v56, v52, v56
	v_sub_f16_e32 v57, v107, v57
	v_pack_b32_f16 v53, v129, v53
	v_fma_f16 v122, v124, 0x39e0, -v122
	v_fma_f16 v118, v124, 0xb9e0, -v118
	v_fmamk_f16 v124, v64, 0x3574, v126
	v_fma_f16 v62, v62, 0x3b00, -v126
	v_fma_f16 v126, v64, 0xb574, -v130
	;; [unrolled: 1-line block ×3, first 2 shown]
	v_mul_f16_e32 v129, 0x3a52, v141
	v_mul_f16_e32 v130, 0x3a52, v142
	;; [unrolled: 1-line block ×8, first 2 shown]
	v_add_f16_e32 v120, v120, v108
	v_add_f16_e32 v121, v121, v109
	;; [unrolled: 1-line block ×6, first 2 shown]
	v_fmamk_f16 v110, v114, 0xbcab, v59
	v_fmamk_f16 v111, v115, 0xbcab, v54
	v_add_f16_e32 v51, v51, v125
	v_add_f16_e32 v64, v106, v127
	;; [unrolled: 1-line block ×4, first 2 shown]
	v_fmac_f16_e32 v124, 0x370e, v60
	v_fmac_f16_e32 v128, 0x370e, v70
	;; [unrolled: 1-line block ×6, first 2 shown]
	v_pack_b32_f16 v54, v59, v54
	v_fmamk_f16 v59, v116, 0x2b26, v129
	v_fmamk_f16 v60, v135, 0x2b26, v130
	v_fma_f16 v70, v139, 0x39e0, -v132
	v_fma_f16 v106, v140, 0x39e0, -v133
	;; [unrolled: 1-line block ×4, first 2 shown]
	v_fmamk_f16 v116, v56, 0x3574, v134
	v_fmamk_f16 v129, v57, 0x3574, v136
	v_fma_f16 v130, v55, 0x3b00, -v134
	v_fma_f16 v55, v58, 0x3b00, -v136
	;; [unrolled: 1-line block ×4, first 2 shown]
	v_add_f16_e32 v57, v138, v120
	v_sub_f16_e32 v58, v121, v131
	v_add_f16_e32 v133, v65, v108
	v_sub_f16_e32 v134, v109, v63
	v_sub_f16_e32 v135, v112, v67
	v_add_f16_e32 v136, v61, v113
	v_add_f16_e32 v67, v67, v112
	v_sub_f16_e32 v61, v113, v61
	v_sub_f16_e32 v65, v108, v65
	v_add_f16_e32 v63, v63, v109
	v_sub_f16_e32 v108, v120, v138
	v_add_f16_e32 v109, v131, v121
	v_add_f16_e32 v69, v69, v110
	;; [unrolled: 1-line block ×7, first 2 shown]
	v_fmamk_f16 v118, v125, 0xbcab, v51
	v_fmamk_f16 v119, v127, 0xbcab, v64
	v_fmac_f16_e32 v116, 0x370e, v52
	v_fmac_f16_e32 v129, 0x370e, v107
	;; [unrolled: 1-line block ×6, first 2 shown]
	v_pack_b32_f16 v52, v57, v58
	v_pack_b32_f16 v61, v67, v61
	;; [unrolled: 1-line block ×4, first 2 shown]
	v_add_f16_e32 v67, v128, v69
	v_sub_f16_e32 v107, v112, v124
	v_add_f16_e32 v108, v66, v110
	v_sub_f16_e32 v109, v111, v126
	v_sub_f16_e32 v120, v113, v68
	v_add_f16_e32 v121, v62, v117
	v_add_f16_e32 v68, v68, v113
	v_sub_f16_e32 v62, v117, v62
	v_sub_f16_e32 v66, v110, v66
	v_add_f16_e32 v110, v126, v111
	v_add_f16_e32 v111, v124, v112
	;; [unrolled: 1-line block ×8, first 2 shown]
	v_pack_b32_f16 v57, v133, v134
	v_pack_b32_f16 v58, v135, v136
	v_sub_f16_e32 v69, v69, v128
	ds_write_b32 v71, v52 offset:540
	ds_write_b32 v71, v57 offset:1080
	ds_write_b32 v71, v58 offset:1620
	ds_write_b32 v71, v61 offset:2160
	ds_write_b32 v71, v63 offset:2700
	ds_write_b32 v71, v65 offset:3240
	ds_write2_b32 v71, v53, v54 offset1:63
	v_pack_b32_f16 v65, v67, v107
	v_pack_b32_f16 v68, v68, v62
	v_add_f16_e32 v52, v129, v112
	v_sub_f16_e32 v60, v113, v116
	v_add_f16_e32 v53, v56, v106
	v_sub_f16_e32 v58, v114, v132
	v_sub_f16_e32 v54, v59, v55
	v_add_f16_e32 v57, v130, v70
	v_add_f16_e32 v55, v55, v59
	v_sub_f16_e32 v59, v70, v130
	v_sub_f16_e32 v56, v106, v56
	v_add_f16_e32 v61, v132, v114
	v_sub_f16_e32 v62, v112, v129
	v_add_f16_e32 v63, v116, v113
	v_pack_b32_f16 v67, v108, v109
	v_pack_b32_f16 v107, v120, v121
	;; [unrolled: 1-line block ×4, first 2 shown]
	ds_write_b32 v71, v65 offset:792
	ds_write_b32 v71, v67 offset:1332
	ds_write_b32 v71, v107 offset:1872
	ds_write_b32 v71, v68 offset:2412
	ds_write_b32 v71, v66 offset:2952
	ds_write_b32 v71, v69 offset:3492
	s_and_saveexec_b32 s0, vcc_lo
	s_cbranch_execz .LBB0_5
; %bb.4:
	v_perm_b32 v51, v64, v51, 0x5040100
	v_perm_b32 v64, v60, v52, 0x5040100
	v_add_nc_u32_e32 v65, 0x100, v71
	v_perm_b32 v66, v58, v53, 0x5040100
	v_perm_b32 v67, v57, v54, 0x5040100
	v_add_nc_u32_e32 v68, 0x600, v71
	;; [unrolled: 3-line block ×3, first 2 shown]
	v_perm_b32 v107, v63, v62, 0x5040100
	ds_write2_b32 v65, v51, v64 offset0:62 offset1:197
	ds_write2_b32 v68, v66, v67 offset0:12 offset1:147
	;; [unrolled: 1-line block ×3, first 2 shown]
	ds_write_b32 v71, v107 offset:3744
.LBB0_5:
	s_or_b32 exec_lo, exec_lo, s0
	v_lshlrev_b32_e32 v51, 2, v85
	s_waitcnt lgkmcnt(0)
	s_barrier
	buffer_gl0_inv
	v_add_co_u32 v51, s0, s12, v51
	v_add_co_ci_u32_e64 v69, null, s13, 0, s0
	v_add_co_u32 v64, s0, 0x800, v51
	v_add_co_ci_u32_e64 v65, s0, 0, v69, s0
	global_load_dword v70, v[64:65], off offset:1732
	v_add_co_u32 v64, s0, 0xec4, v51
	v_add_co_ci_u32_e64 v65, s0, 0, v69, s0
	v_add_co_u32 v66, s0, 0x1800, v51
	v_add_co_ci_u32_e64 v67, s0, 0, v69, s0
	s_clause 0xa
	global_load_dword v112, v[64:65], off offset:252
	global_load_dword v114, v[66:67], off offset:1164
	;; [unrolled: 1-line block ×11, first 2 shown]
	v_add_co_u32 v68, s0, 0x1000, v51
	v_add_co_ci_u32_e64 v69, s0, 0, v69, s0
	s_clause 0x2
	global_load_dword v125, v[66:67], off offset:912
	global_load_dword v126, v[64:65], off offset:1008
	;; [unrolled: 1-line block ×3, first 2 shown]
	ds_read2_b32 v[67:68], v71 offset1:63
	ds_read_b32 v115, v71 offset:3528
	v_add_nc_u32_e32 v66, 0x800, v71
	s_waitcnt lgkmcnt(1)
	v_lshrrev_b32_e32 v51, 16, v67
	v_lshrrev_b32_e32 v113, 16, v68
	s_waitcnt lgkmcnt(0)
	v_lshrrev_b32_e32 v128, 16, v115
	s_waitcnt vmcnt(14)
	v_mul_f16_sdwa v64, v51, v70 dst_sel:DWORD dst_unused:UNUSED_PAD src0_sel:DWORD src1_sel:WORD_1
	v_mul_f16_sdwa v65, v67, v70 dst_sel:DWORD dst_unused:UNUSED_PAD src0_sel:DWORD src1_sel:WORD_1
	s_waitcnt vmcnt(13)
	v_mul_f16_sdwa v129, v113, v112 dst_sel:DWORD dst_unused:UNUSED_PAD src0_sel:DWORD src1_sel:WORD_1
	v_mul_f16_sdwa v130, v68, v112 dst_sel:DWORD dst_unused:UNUSED_PAD src0_sel:DWORD src1_sel:WORD_1
	s_waitcnt vmcnt(12)
	v_mul_f16_sdwa v131, v128, v114 dst_sel:DWORD dst_unused:UNUSED_PAD src0_sel:DWORD src1_sel:WORD_1
	v_fma_f16 v64, v67, v70, -v64
	v_fmac_f16_e32 v65, v51, v70
	v_add_nc_u32_e32 v51, 0x200, v71
	v_add_nc_u32_e32 v67, 0x400, v71
	v_mul_f16_sdwa v132, v115, v114 dst_sel:DWORD dst_unused:UNUSED_PAD src0_sel:DWORD src1_sel:WORD_1
	v_fma_f16 v129, v68, v112, -v129
	v_pack_b32_f16 v65, v64, v65
	v_add_nc_u32_e32 v64, 0xa00, v71
	v_fmac_f16_e32 v130, v113, v112
	v_fma_f16 v131, v115, v114, -v131
	v_fmac_f16_e32 v132, v128, v114
	ds_write_b32 v71, v65
	v_add_nc_u32_e32 v65, 0x600, v71
	ds_read2_b32 v[69:70], v51 offset0:124 offset1:187
	ds_read2_b32 v[106:107], v66 offset0:118 offset1:181
	;; [unrolled: 1-line block ×6, first 2 shown]
	v_pack_b32_f16 v128, v129, v130
	v_pack_b32_f16 v129, v131, v132
	v_add_nc_u32_e32 v68, 0xc00, v71
	s_waitcnt lgkmcnt(5)
	v_lshrrev_b32_e32 v130, 16, v70
	s_waitcnt vmcnt(11)
	v_mul_f16_sdwa v131, v70, v116 dst_sel:DWORD dst_unused:UNUSED_PAD src0_sel:DWORD src1_sel:WORD_1
	s_waitcnt lgkmcnt(4)
	v_lshrrev_b32_e32 v132, 16, v106
	s_waitcnt vmcnt(10)
	v_mul_f16_sdwa v133, v106, v117 dst_sel:DWORD dst_unused:UNUSED_PAD src0_sel:DWORD src1_sel:WORD_1
	;; [unrolled: 4-line block ×3, first 2 shown]
	v_lshrrev_b32_e32 v136, 16, v107
	s_waitcnt vmcnt(8)
	v_mul_f16_sdwa v137, v107, v119 dst_sel:DWORD dst_unused:UNUSED_PAD src0_sel:DWORD src1_sel:WORD_1
	s_waitcnt lgkmcnt(2)
	v_lshrrev_b32_e32 v138, 16, v110
	s_waitcnt vmcnt(7)
	v_mul_f16_sdwa v139, v110, v120 dst_sel:DWORD dst_unused:UNUSED_PAD src0_sel:DWORD src1_sel:WORD_1
	v_lshrrev_b32_e32 v140, 16, v109
	s_waitcnt vmcnt(6)
	v_mul_f16_sdwa v141, v109, v121 dst_sel:DWORD dst_unused:UNUSED_PAD src0_sel:DWORD src1_sel:WORD_1
	s_waitcnt lgkmcnt(1)
	v_lshrrev_b32_e32 v142, 16, v112
	s_waitcnt vmcnt(5)
	v_mul_f16_sdwa v143, v112, v122 dst_sel:DWORD dst_unused:UNUSED_PAD src0_sel:DWORD src1_sel:WORD_1
	;; [unrolled: 7-line block ×3, first 2 shown]
	v_lshrrev_b32_e32 v148, 16, v113
	s_waitcnt vmcnt(2)
	v_mul_f16_sdwa v149, v113, v125 dst_sel:DWORD dst_unused:UNUSED_PAD src0_sel:DWORD src1_sel:WORD_1
	v_lshrrev_b32_e32 v150, 16, v69
	s_waitcnt vmcnt(1)
	v_mul_f16_sdwa v151, v69, v126 dst_sel:DWORD dst_unused:UNUSED_PAD src0_sel:DWORD src1_sel:WORD_1
	v_lshrrev_b32_e32 v152, 16, v115
	v_mul_f16_sdwa v154, v130, v116 dst_sel:DWORD dst_unused:UNUSED_PAD src0_sel:DWORD src1_sel:WORD_1
	v_fmac_f16_e32 v131, v130, v116
	v_mul_f16_sdwa v130, v132, v117 dst_sel:DWORD dst_unused:UNUSED_PAD src0_sel:DWORD src1_sel:WORD_1
	v_fmac_f16_e32 v133, v132, v117
	;; [unrolled: 2-line block ×8, first 2 shown]
	v_mul_f16_sdwa v144, v146, v124 dst_sel:DWORD dst_unused:UNUSED_PAD src0_sel:DWORD src1_sel:WORD_1
	s_waitcnt vmcnt(0)
	v_mul_f16_sdwa v153, v115, v127 dst_sel:DWORD dst_unused:UNUSED_PAD src0_sel:DWORD src1_sel:WORD_1
	v_fmac_f16_e32 v147, v146, v124
	v_mul_f16_sdwa v146, v148, v125 dst_sel:DWORD dst_unused:UNUSED_PAD src0_sel:DWORD src1_sel:WORD_1
	v_fmac_f16_e32 v149, v148, v125
	;; [unrolled: 2-line block ×3, first 2 shown]
	v_mul_f16_sdwa v150, v152, v127 dst_sel:DWORD dst_unused:UNUSED_PAD src0_sel:DWORD src1_sel:WORD_1
	v_fma_f16 v70, v70, v116, -v154
	v_fma_f16 v108, v108, v118, -v132
	;; [unrolled: 1-line block ×7, first 2 shown]
	v_fmac_f16_e32 v153, v152, v127
	v_fma_f16 v106, v106, v117, -v130
	v_fma_f16 v111, v111, v123, -v142
	;; [unrolled: 1-line block ×5, first 2 shown]
	v_pack_b32_f16 v70, v70, v131
	v_pack_b32_f16 v108, v108, v135
	;; [unrolled: 1-line block ×12, first 2 shown]
	ds_write2_b32 v67, v70, v108 offset0:59 offset1:122
	ds_write2_b32 v71, v128, v110 offset0:63 offset1:126
	;; [unrolled: 1-line block ×7, first 2 shown]
	s_waitcnt lgkmcnt(0)
	s_barrier
	buffer_gl0_inv
	ds_read2_b32 v[69:70], v71 offset1:63
	ds_read2_b32 v[106:107], v67 offset0:122 offset1:185
	ds_read2_b32 v[108:109], v66 offset0:118 offset1:181
	;; [unrolled: 1-line block ×6, first 2 shown]
	ds_read_b32 v118, v71 offset:3528
	s_waitcnt lgkmcnt(0)
	s_barrier
	buffer_gl0_inv
	v_pk_add_f16 v119, v70, v106
	v_pk_add_f16 v120, v106, v109
	v_pk_add_f16 v106, v106, v109 neg_lo:[0,1] neg_hi:[0,1]
	v_pk_add_f16 v121, v110, v107
	v_pk_add_f16 v122, v107, v112
	v_pk_add_f16 v107, v107, v112 neg_lo:[0,1] neg_hi:[0,1]
	;; [unrolled: 3-line block ×5, first 2 shown]
	v_pk_fma_f16 v70, v120, 0.5, v70 op_sel_hi:[1,0,1] neg_lo:[1,0,0] neg_hi:[1,0,0]
	v_pk_mul_f16 v106, 0x3aee, v106 op_sel_hi:[0,1]
	v_pk_fma_f16 v110, v122, 0.5, v110 op_sel_hi:[1,0,1] neg_lo:[1,0,0] neg_hi:[1,0,0]
	v_pk_mul_f16 v107, 0x3aee, v107 op_sel_hi:[0,1]
	;; [unrolled: 2-line block ×5, first 2 shown]
	v_pk_add_f16 v109, v119, v109
	v_pk_add_f16 v119, v70, v106 op_sel:[0,1] op_sel_hi:[1,0] neg_lo:[0,1] neg_hi:[0,1]
	v_pk_add_f16 v70, v70, v106 op_sel:[0,1] op_sel_hi:[1,0]
	v_pk_add_f16 v106, v110, v107 op_sel:[0,1] op_sel_hi:[1,0] neg_lo:[0,1] neg_hi:[0,1]
	v_pk_add_f16 v107, v110, v107 op_sel:[0,1] op_sel_hi:[1,0]
	;; [unrolled: 2-line block ×5, first 2 shown]
	v_pk_add_f16 v108, v126, v108
	v_bfi_b32 v116, 0xffff, v119, v70
	v_bfi_b32 v120, 0xffff, v114, v69
	;; [unrolled: 1-line block ×4, first 2 shown]
	v_pk_add_f16 v112, v121, v112
	v_pk_add_f16 v113, v123, v113
	v_bfi_b32 v119, 0xffff, v106, v107
	v_bfi_b32 v106, 0xffff, v107, v106
	v_bfi_b32 v107, 0xffff, v110, v111
	v_bfi_b32 v110, 0xffff, v111, v110
	v_bfi_b32 v111, 0xffff, v117, v115
	v_pk_add_f16 v118, v125, v118
	v_bfi_b32 v114, 0xffff, v115, v117
	ds_write2_b32 v88, v108, v120 offset1:1
	ds_write_b32 v88, v69 offset:8
	ds_write2_b32 v92, v109, v116 offset1:1
	ds_write_b32 v92, v70 offset:8
	;; [unrolled: 2-line block ×5, first 2 shown]
	s_waitcnt lgkmcnt(0)
	s_barrier
	buffer_gl0_inv
	ds_read2_b32 v[69:70], v71 offset1:63
	ds_read2_b32 v[88:89], v51 offset0:124 offset1:187
	ds_read2_b32 v[90:91], v66 offset0:118 offset1:181
	;; [unrolled: 1-line block ×6, first 2 shown]
	ds_read_b32 v92, v71 offset:3528
	s_waitcnt lgkmcnt(0)
	s_barrier
	buffer_gl0_inv
	v_lshrrev_b32_e32 v114, 16, v69
	v_lshrrev_b32_e32 v115, 16, v89
	;; [unrolled: 1-line block ×3, first 2 shown]
	v_mul_f16_sdwa v129, v27, v89 dst_sel:DWORD dst_unused:UNUSED_PAD src0_sel:WORD_1 src1_sel:DWORD
	v_lshrrev_b32_e32 v118, 16, v106
	v_lshrrev_b32_e32 v119, 16, v91
	v_mul_f16_sdwa v130, v28, v90 dst_sel:DWORD dst_unused:UNUSED_PAD src0_sel:WORD_1 src1_sel:DWORD
	v_mul_f16_sdwa v131, v29, v106 dst_sel:DWORD dst_unused:UNUSED_PAD src0_sel:WORD_1 src1_sel:DWORD
	v_lshrrev_b32_e32 v121, 16, v107
	v_lshrrev_b32_e32 v122, 16, v110
	;; [unrolled: 1-line block ×6, first 2 shown]
	v_mul_f16_sdwa v132, v30, v91 dst_sel:DWORD dst_unused:UNUSED_PAD src0_sel:WORD_1 src1_sel:DWORD
	v_mul_f16_sdwa v133, v33, v107 dst_sel:DWORD dst_unused:UNUSED_PAD src0_sel:WORD_1 src1_sel:DWORD
	;; [unrolled: 1-line block ×8, first 2 shown]
	v_fma_f16 v115, v27, v115, -v129
	v_mul_f16_sdwa v129, v28, v116 dst_sel:DWORD dst_unused:UNUSED_PAD src0_sel:WORD_1 src1_sel:DWORD
	v_fma_f16 v116, v28, v116, -v130
	v_mul_f16_sdwa v130, v29, v118 dst_sel:DWORD dst_unused:UNUSED_PAD src0_sel:WORD_1 src1_sel:DWORD
	;; [unrolled: 2-line block ×9, first 2 shown]
	v_fma_f16 v128, v26, v128, -v138
	v_fmac_f16_e32 v139, v27, v89
	v_fmac_f16_e32 v129, v28, v90
	;; [unrolled: 1-line block ×4, first 2 shown]
	v_lshrrev_b32_e32 v117, 16, v70
	v_lshrrev_b32_e32 v120, 16, v108
	v_fmac_f16_e32 v132, v33, v107
	v_fmac_f16_e32 v133, v34, v110
	;; [unrolled: 1-line block ×6, first 2 shown]
	v_lshrrev_b32_e32 v123, 16, v109
	v_lshrrev_b32_e32 v126, 16, v88
	v_add_f16_e32 v26, v114, v115
	v_add_f16_e32 v27, v115, v116
	;; [unrolled: 1-line block ×7, first 2 shown]
	v_sub_f16_e32 v25, v115, v116
	v_sub_f16_e32 v28, v118, v119
	v_add_f16_e32 v29, v117, v118
	v_sub_f16_e32 v31, v121, v122
	v_add_f16_e32 v32, v120, v121
	v_add_f16_e32 v90, v124, v125
	;; [unrolled: 1-line block ×9, first 2 shown]
	v_fmac_f16_e32 v114, -0.5, v27
	v_sub_f16_e32 v27, v139, v129
	v_add_f16_e32 v111, v70, v130
	v_fmac_f16_e32 v117, -0.5, v30
	v_sub_f16_e32 v30, v130, v131
	v_add_f16_e32 v113, v108, v132
	v_fmac_f16_e32 v120, -0.5, v33
	v_sub_f16_e32 v33, v132, v133
	v_add_f16_e32 v116, v109, v134
	v_fmac_f16_e32 v126, -0.5, v106
	v_sub_f16_e32 v106, v136, v137
	v_fma_f16 v69, -0.5, v110, v69
	v_fmac_f16_e32 v70, -0.5, v112
	v_sub_f16_e32 v34, v124, v125
	v_sub_f16_e32 v91, v127, v128
	v_add_f16_e32 v29, v29, v119
	v_fmac_f16_e32 v123, -0.5, v90
	v_sub_f16_e32 v90, v134, v135
	v_add_f16_e32 v119, v88, v136
	v_fma_f16 v108, -0.5, v115, v108
	v_fmac_f16_e32 v109, -0.5, v118
	v_fmac_f16_e32 v88, -0.5, v121
	v_add_f16_e32 v32, v32, v122
	v_add_f16_e32 v89, v89, v125
	;; [unrolled: 1-line block ×3, first 2 shown]
	v_fmamk_f16 v110, v27, 0x3aee, v114
	v_fmac_f16_e32 v114, 0xbaee, v27
	v_add_f16_e32 v27, v111, v131
	v_fmamk_f16 v111, v30, 0x3aee, v117
	v_fmac_f16_e32 v117, 0xbaee, v30
	v_add_f16_e32 v30, v113, v133
	;; [unrolled: 3-line block ×3, first 2 shown]
	v_fmamk_f16 v115, v106, 0x3aee, v126
	v_fmac_f16_e32 v126, 0xbaee, v106
	v_fmamk_f16 v106, v25, 0xbaee, v69
	v_fmac_f16_e32 v69, 0x3aee, v25
	;; [unrolled: 2-line block ×3, first 2 shown]
	v_add_f16_e32 v92, v92, v128
	v_fmamk_f16 v113, v90, 0x3aee, v123
	v_fmac_f16_e32 v123, 0xbaee, v90
	v_add_f16_e32 v90, v119, v137
	v_fmamk_f16 v28, v31, 0xbaee, v108
	v_fmac_f16_e32 v108, 0x3aee, v31
	v_fmamk_f16 v31, v34, 0xbaee, v109
	v_fmac_f16_e32 v109, 0x3aee, v34
	;; [unrolled: 2-line block ×3, first 2 shown]
	v_pack_b32_f16 v26, v107, v26
	v_pack_b32_f16 v27, v27, v29
	;; [unrolled: 1-line block ×15, first 2 shown]
	ds_write2_b32 v93, v26, v33 offset1:3
	ds_write_b32 v93, v69 offset:24
	ds_write2_b32 v97, v27, v25 offset1:3
	ds_write_b32 v97, v70 offset:24
	;; [unrolled: 2-line block ×5, first 2 shown]
	s_waitcnt lgkmcnt(0)
	s_barrier
	buffer_gl0_inv
	ds_read2_b32 v[25:26], v71 offset1:63
	ds_read2_b32 v[27:28], v51 offset0:124 offset1:187
	ds_read2_b32 v[29:30], v66 offset0:118 offset1:181
	;; [unrolled: 1-line block ×6, first 2 shown]
	ds_read_b32 v90, v71 offset:3528
	s_waitcnt lgkmcnt(0)
	s_barrier
	buffer_gl0_inv
	v_lshrrev_b32_e32 v91, 16, v25
	v_lshrrev_b32_e32 v92, 16, v28
	;; [unrolled: 1-line block ×3, first 2 shown]
	v_mul_f16_sdwa v114, v37, v28 dst_sel:DWORD dst_unused:UNUSED_PAD src0_sel:WORD_1 src1_sel:DWORD
	v_lshrrev_b32_e32 v95, 16, v31
	v_lshrrev_b32_e32 v96, 16, v30
	v_mul_f16_sdwa v115, v38, v29 dst_sel:DWORD dst_unused:UNUSED_PAD src0_sel:WORD_1 src1_sel:DWORD
	v_mul_f16_sdwa v116, v39, v31 dst_sel:DWORD dst_unused:UNUSED_PAD src0_sel:WORD_1 src1_sel:DWORD
	v_lshrrev_b32_e32 v106, 16, v32
	v_lshrrev_b32_e32 v107, 16, v69
	v_mul_f16_sdwa v117, v40, v30 dst_sel:DWORD dst_unused:UNUSED_PAD src0_sel:WORD_1 src1_sel:DWORD
	v_mul_f16_sdwa v118, v43, v32 dst_sel:DWORD dst_unused:UNUSED_PAD src0_sel:WORD_1 src1_sel:DWORD
	v_lshrrev_b32_e32 v109, 16, v88
	v_lshrrev_b32_e32 v110, 16, v70
	;; [unrolled: 1-line block ×4, first 2 shown]
	v_mul_f16_sdwa v119, v44, v69 dst_sel:DWORD dst_unused:UNUSED_PAD src0_sel:WORD_1 src1_sel:DWORD
	v_mul_f16_sdwa v120, v41, v88 dst_sel:DWORD dst_unused:UNUSED_PAD src0_sel:WORD_1 src1_sel:DWORD
	;; [unrolled: 1-line block ×6, first 2 shown]
	v_fma_f16 v92, v37, v92, -v114
	v_mul_f16_sdwa v114, v38, v93 dst_sel:DWORD dst_unused:UNUSED_PAD src0_sel:WORD_1 src1_sel:DWORD
	v_fma_f16 v93, v38, v93, -v115
	v_mul_f16_sdwa v115, v39, v95 dst_sel:DWORD dst_unused:UNUSED_PAD src0_sel:WORD_1 src1_sel:DWORD
	;; [unrolled: 2-line block ×9, first 2 shown]
	v_fma_f16 v113, v36, v113, -v123
	v_fmac_f16_e32 v124, v37, v28
	v_fmac_f16_e32 v114, v38, v29
	;; [unrolled: 1-line block ×6, first 2 shown]
	v_lshrrev_b32_e32 v94, 16, v26
	v_lshrrev_b32_e32 v97, 16, v33
	;; [unrolled: 1-line block ×3, first 2 shown]
	v_fmac_f16_e32 v119, v41, v88
	v_fmac_f16_e32 v120, v42, v70
	;; [unrolled: 1-line block ×4, first 2 shown]
	v_add_f16_e32 v30, v92, v93
	v_add_f16_e32 v35, v95, v96
	;; [unrolled: 1-line block ×5, first 2 shown]
	v_sub_f16_e32 v28, v92, v93
	v_add_f16_e32 v29, v91, v92
	v_add_f16_e32 v38, v106, v107
	;; [unrolled: 1-line block ×3, first 2 shown]
	v_lshrrev_b32_e32 v108, 16, v34
	v_sub_f16_e32 v31, v95, v96
	v_add_f16_e32 v32, v94, v95
	v_add_f16_e32 v37, v97, v106
	;; [unrolled: 1-line block ×5, first 2 shown]
	v_fmac_f16_e32 v91, -0.5, v30
	v_sub_f16_e32 v30, v124, v114
	v_add_f16_e32 v88, v26, v115
	v_fmac_f16_e32 v94, -0.5, v35
	v_sub_f16_e32 v35, v115, v116
	v_add_f16_e32 v90, v33, v117
	v_add_f16_e32 v95, v119, v120
	v_fmac_f16_e32 v111, -0.5, v44
	v_sub_f16_e32 v44, v121, v122
	v_fma_f16 v25, -0.5, v70, v25
	v_sub_f16_e32 v36, v106, v107
	v_add_f16_e32 v106, v121, v122
	v_fmac_f16_e32 v26, -0.5, v89
	v_fmac_f16_e32 v97, -0.5, v38
	v_sub_f16_e32 v38, v117, v118
	v_fma_f16 v33, -0.5, v92, v33
	v_sub_f16_e32 v39, v109, v110
	v_add_f16_e32 v40, v108, v109
	v_add_f16_e32 v29, v29, v93
	v_add_f16_e32 v32, v32, v96
	v_add_f16_e32 v37, v37, v107
	v_add_f16_e32 v93, v34, v119
	v_fmac_f16_e32 v108, -0.5, v41
	v_sub_f16_e32 v41, v119, v120
	v_add_f16_e32 v69, v69, v114
	v_fmamk_f16 v70, v30, 0x3aee, v91
	v_fmac_f16_e32 v91, 0xbaee, v30
	v_add_f16_e32 v30, v88, v116
	v_fmamk_f16 v88, v35, 0x3aee, v94
	v_fmac_f16_e32 v94, 0xbaee, v35
	v_add_f16_e32 v35, v90, v118
	v_fmac_f16_e32 v34, -0.5, v95
	v_fmamk_f16 v92, v44, 0x3aee, v111
	v_fmac_f16_e32 v111, 0xbaee, v44
	v_fmamk_f16 v44, v28, 0xbaee, v25
	v_fmac_f16_e32 v25, 0x3aee, v28
	v_sub_f16_e32 v42, v112, v113
	v_add_f16_e32 v96, v27, v121
	v_fmac_f16_e32 v27, -0.5, v106
	v_fmamk_f16 v28, v31, 0xbaee, v26
	v_fmac_f16_e32 v26, 0x3aee, v31
	v_fmamk_f16 v89, v38, 0x3aee, v97
	v_fmac_f16_e32 v97, 0xbaee, v38
	;; [unrolled: 2-line block ×3, first 2 shown]
	v_add_f16_e32 v40, v40, v110
	v_add_f16_e32 v38, v93, v120
	v_fmamk_f16 v90, v41, 0x3aee, v108
	v_fmamk_f16 v36, v39, 0xbaee, v34
	v_pack_b32_f16 v29, v69, v29
	v_pack_b32_f16 v30, v30, v32
	;; [unrolled: 1-line block ×4, first 2 shown]
	v_fmac_f16_e32 v108, 0xbaee, v41
	v_fmac_f16_e32 v34, 0x3aee, v39
	v_pack_b32_f16 v25, v25, v91
	v_add_f16_e32 v43, v43, v113
	v_add_f16_e32 v41, v96, v122
	v_fmamk_f16 v39, v42, 0xbaee, v27
	v_pack_b32_f16 v28, v28, v88
	v_fmac_f16_e32 v27, 0x3aee, v42
	v_pack_b32_f16 v26, v26, v94
	v_pack_b32_f16 v31, v31, v89
	;; [unrolled: 1-line block ×3, first 2 shown]
	ds_write2_b32 v102, v29, v35 offset1:9
	ds_write_b32 v102, v25 offset:72
	ds_write2_b32 v105, v30, v28 offset1:9
	ds_write_b32 v105, v26 offset:72
	ds_write2_b32 v104, v32, v31 offset1:9
	v_pack_b32_f16 v25, v38, v40
	v_pack_b32_f16 v26, v36, v90
	;; [unrolled: 1-line block ×6, first 2 shown]
	ds_write_b32 v104, v33 offset:72
	ds_write2_b32 v103, v25, v26 offset1:9
	ds_write_b32 v103, v28 offset:72
	ds_write2_b32 v101, v29, v30 offset1:9
	ds_write_b32 v101, v27 offset:72
	s_waitcnt lgkmcnt(0)
	s_barrier
	buffer_gl0_inv
	ds_read2_b32 v[25:26], v71 offset1:63
	ds_read2_b32 v[28:29], v71 offset0:126 offset1:189
	ds_read2_b32 v[30:31], v67 offset0:122 offset1:185
	ds_read2_b32 v[32:33], v65 offset0:120 offset1:183
	ds_read2_b32 v[34:35], v64 offset0:116 offset1:179
	ds_read2_b32 v[36:37], v51 offset0:124 offset1:187
	ds_read2_b32 v[38:39], v66 offset0:118 offset1:181
	ds_read_b32 v27, v71 offset:3528
	s_waitcnt lgkmcnt(0)
	s_barrier
	buffer_gl0_inv
	v_lshrrev_b32_e32 v40, 16, v25
	v_lshrrev_b32_e32 v41, 16, v29
	;; [unrolled: 1-line block ×6, first 2 shown]
	v_mul_f16_sdwa v95, v12, v41 dst_sel:DWORD dst_unused:UNUSED_PAD src0_sel:WORD_1 src1_sel:DWORD
	v_lshrrev_b32_e32 v70, 16, v31
	v_mul_f16_sdwa v96, v12, v29 dst_sel:DWORD dst_unused:UNUSED_PAD src0_sel:WORD_1 src1_sel:DWORD
	v_mul_f16_sdwa v97, v13, v42 dst_sel:DWORD dst_unused:UNUSED_PAD src0_sel:WORD_1 src1_sel:DWORD
	;; [unrolled: 1-line block ×4, first 2 shown]
	v_fmac_f16_e32 v95, v12, v29
	v_mul_f16_sdwa v29, v14, v33 dst_sel:DWORD dst_unused:UNUSED_PAD src0_sel:WORD_1 src1_sel:DWORD
	v_lshrrev_b32_e32 v88, 16, v38
	v_lshrrev_b32_e32 v89, 16, v35
	v_fma_f16 v12, v12, v41, -v96
	v_fmac_f16_e32 v97, v13, v30
	v_fma_f16 v13, v13, v42, -v101
	v_fmac_f16_e32 v102, v14, v33
	v_mul_f16_sdwa v30, v15, v44 dst_sel:DWORD dst_unused:UNUSED_PAD src0_sel:WORD_1 src1_sel:DWORD
	v_mul_f16_sdwa v33, v15, v34 dst_sel:DWORD dst_unused:UNUSED_PAD src0_sel:WORD_1 src1_sel:DWORD
	;; [unrolled: 1-line block ×4, first 2 shown]
	v_fma_f16 v14, v14, v43, -v29
	v_mul_f16_sdwa v29, v9, v70 dst_sel:DWORD dst_unused:UNUSED_PAD src0_sel:WORD_1 src1_sel:DWORD
	v_lshrrev_b32_e32 v91, 16, v37
	v_lshrrev_b32_e32 v92, 16, v32
	v_fmac_f16_e32 v30, v15, v34
	v_fma_f16 v15, v15, v44, -v33
	v_fmac_f16_e32 v41, v8, v36
	v_fma_f16 v8, v8, v51, -v42
	v_mul_f16_sdwa v33, v9, v31 dst_sel:DWORD dst_unused:UNUSED_PAD src0_sel:WORD_1 src1_sel:DWORD
	v_mul_f16_sdwa v34, v10, v88 dst_sel:DWORD dst_unused:UNUSED_PAD src0_sel:WORD_1 src1_sel:DWORD
	v_mul_f16_sdwa v36, v10, v38 dst_sel:DWORD dst_unused:UNUSED_PAD src0_sel:WORD_1 src1_sel:DWORD
	v_mul_f16_sdwa v42, v11, v89 dst_sel:DWORD dst_unused:UNUSED_PAD src0_sel:WORD_1 src1_sel:DWORD
	v_fmac_f16_e32 v29, v9, v31
	v_mul_f16_sdwa v31, v11, v35 dst_sel:DWORD dst_unused:UNUSED_PAD src0_sel:WORD_1 src1_sel:DWORD
	v_lshrrev_b32_e32 v93, 16, v39
	v_fma_f16 v9, v9, v70, -v33
	v_fmac_f16_e32 v34, v10, v38
	v_fma_f16 v10, v10, v88, -v36
	v_fmac_f16_e32 v42, v11, v35
	v_mul_f16_sdwa v33, v4, v91 dst_sel:DWORD dst_unused:UNUSED_PAD src0_sel:WORD_1 src1_sel:DWORD
	v_mul_f16_sdwa v35, v4, v37 dst_sel:DWORD dst_unused:UNUSED_PAD src0_sel:WORD_1 src1_sel:DWORD
	;; [unrolled: 1-line block ×4, first 2 shown]
	v_fma_f16 v11, v11, v89, -v31
	v_add_f16_e32 v31, v97, v102
	v_lshrrev_b32_e32 v94, 16, v27
	v_fmac_f16_e32 v33, v4, v37
	v_fma_f16 v4, v4, v91, -v35
	v_fmac_f16_e32 v36, v5, v32
	v_fma_f16 v5, v5, v92, -v38
	v_mul_f16_sdwa v32, v6, v93 dst_sel:DWORD dst_unused:UNUSED_PAD src0_sel:WORD_1 src1_sel:DWORD
	v_mul_f16_sdwa v35, v6, v39 dst_sel:DWORD dst_unused:UNUSED_PAD src0_sel:WORD_1 src1_sel:DWORD
	v_add_f16_e32 v38, v25, v95
	v_fma_f16 v31, -0.5, v31, v25
	v_sub_f16_e32 v43, v12, v15
	v_mul_f16_sdwa v37, v7, v94 dst_sel:DWORD dst_unused:UNUSED_PAD src0_sel:WORD_1 src1_sel:DWORD
	v_fmac_f16_e32 v32, v6, v39
	v_fma_f16 v6, v6, v93, -v35
	v_add_f16_e32 v35, v38, v97
	v_fmamk_f16 v38, v43, 0xbb9c, v31
	v_sub_f16_e32 v39, v13, v14
	v_sub_f16_e32 v44, v95, v97
	;; [unrolled: 1-line block ×3, first 2 shown]
	v_add_f16_e32 v70, v95, v30
	v_fmac_f16_e32 v31, 0x3b9c, v43
	v_fmac_f16_e32 v37, v7, v27
	v_mul_f16_sdwa v27, v7, v27 dst_sel:DWORD dst_unused:UNUSED_PAD src0_sel:WORD_1 src1_sel:DWORD
	v_add_f16_e32 v35, v35, v102
	v_fmac_f16_e32 v38, 0xb8b4, v39
	v_add_f16_e32 v44, v44, v51
	v_fma_f16 v25, -0.5, v70, v25
	v_fmac_f16_e32 v31, 0x38b4, v39
	v_add_f16_e32 v88, v40, v12
	v_add_f16_e32 v89, v13, v14
	v_fma_f16 v7, v7, v94, -v27
	v_add_f16_e32 v35, v35, v30
	v_fmac_f16_e32 v38, 0x34f2, v44
	v_fmamk_f16 v70, v39, 0x3b9c, v25
	v_sub_f16_e32 v27, v97, v95
	v_sub_f16_e32 v51, v102, v30
	v_fmac_f16_e32 v25, 0xbb9c, v39
	v_add_f16_e32 v39, v88, v13
	v_fma_f16 v88, -0.5, v89, v40
	v_sub_f16_e32 v30, v95, v30
	v_fmac_f16_e32 v31, 0x34f2, v44
	v_add_f16_e32 v44, v12, v15
	v_sub_f16_e32 v89, v12, v13
	v_sub_f16_e32 v12, v13, v12
	;; [unrolled: 1-line block ×3, first 2 shown]
	v_fmac_f16_e32 v70, 0xb8b4, v43
	v_add_f16_e32 v27, v27, v51
	v_fmac_f16_e32 v25, 0x38b4, v43
	v_add_f16_e32 v39, v39, v14
	v_fmamk_f16 v43, v30, 0x3b9c, v88
	v_sub_f16_e32 v51, v97, v102
	v_sub_f16_e32 v91, v15, v14
	v_fmac_f16_e32 v40, -0.5, v44
	v_fmac_f16_e32 v88, 0xbb9c, v30
	v_add_f16_e32 v14, v29, v34
	v_add_f16_e32 v12, v12, v13
	;; [unrolled: 1-line block ×3, first 2 shown]
	v_lshrrev_b32_e32 v69, 16, v26
	v_fmac_f16_e32 v70, 0x34f2, v27
	v_fmac_f16_e32 v25, 0x34f2, v27
	v_add_f16_e32 v39, v39, v15
	v_fmac_f16_e32 v43, 0x38b4, v51
	v_add_f16_e32 v27, v89, v91
	v_fmamk_f16 v44, v51, 0xbb9c, v40
	v_fmac_f16_e32 v88, 0xb8b4, v51
	v_fma_f16 v14, -0.5, v14, v26
	v_sub_f16_e32 v15, v8, v11
	v_fmac_f16_e32 v40, 0x3b9c, v51
	v_add_f16_e32 v13, v13, v29
	v_add_f16_e32 v92, v41, v42
	v_fmac_f16_e32 v43, 0x34f2, v27
	v_fmac_f16_e32 v44, 0x38b4, v30
	;; [unrolled: 1-line block ×3, first 2 shown]
	v_fmamk_f16 v89, v15, 0xbb9c, v14
	v_sub_f16_e32 v27, v9, v10
	v_sub_f16_e32 v51, v41, v29
	;; [unrolled: 1-line block ×3, first 2 shown]
	v_fmac_f16_e32 v40, 0xb8b4, v30
	v_add_f16_e32 v13, v13, v34
	v_fmac_f16_e32 v26, -0.5, v92
	v_fmac_f16_e32 v14, 0x3b9c, v15
	v_add_f16_e32 v92, v69, v8
	v_fmac_f16_e32 v44, 0x34f2, v12
	v_fmac_f16_e32 v89, 0xb8b4, v27
	v_add_f16_e32 v30, v51, v91
	v_fmac_f16_e32 v40, 0x34f2, v12
	v_add_f16_e32 v12, v13, v42
	v_fmamk_f16 v13, v27, 0x3b9c, v26
	v_sub_f16_e32 v51, v29, v41
	v_sub_f16_e32 v91, v34, v42
	v_fmac_f16_e32 v14, 0x38b4, v27
	v_add_f16_e32 v93, v9, v10
	v_fmac_f16_e32 v26, 0xbb9c, v27
	v_add_f16_e32 v27, v92, v9
	v_fmac_f16_e32 v13, 0xb8b4, v15
	v_add_f16_e32 v51, v51, v91
	v_fma_f16 v91, -0.5, v93, v69
	v_sub_f16_e32 v41, v41, v42
	v_fmac_f16_e32 v26, 0x38b4, v15
	v_add_f16_e32 v15, v27, v10
	v_add_f16_e32 v27, v8, v11
	v_fmac_f16_e32 v89, 0x34f2, v30
	v_fmac_f16_e32 v14, 0x34f2, v30
	v_fmamk_f16 v30, v41, 0x3b9c, v91
	v_sub_f16_e32 v29, v29, v34
	v_sub_f16_e32 v34, v8, v9
	;; [unrolled: 1-line block ×3, first 2 shown]
	v_fmac_f16_e32 v69, -0.5, v27
	v_fmac_f16_e32 v91, 0xbb9c, v41
	v_sub_f16_e32 v8, v9, v8
	v_sub_f16_e32 v9, v10, v11
	v_add_f16_e32 v10, v36, v32
	v_fmac_f16_e32 v13, 0x34f2, v51
	v_fmac_f16_e32 v26, 0x34f2, v51
	;; [unrolled: 1-line block ×3, first 2 shown]
	v_add_f16_e32 v27, v34, v42
	v_fmamk_f16 v34, v29, 0xbb9c, v69
	v_fmac_f16_e32 v91, 0xb8b4, v29
	v_fmac_f16_e32 v69, 0x3b9c, v29
	v_fma_f16 v51, -0.5, v10, v28
	v_sub_f16_e32 v10, v4, v7
	v_add_f16_e32 v15, v15, v11
	v_fmac_f16_e32 v30, 0x34f2, v27
	v_fmac_f16_e32 v34, 0x38b4, v41
	v_add_f16_e32 v8, v8, v9
	v_add_f16_e32 v9, v28, v33
	v_fmac_f16_e32 v91, 0x34f2, v27
	v_fmac_f16_e32 v69, 0xb8b4, v41
	v_fmamk_f16 v11, v10, 0xbb9c, v51
	v_sub_f16_e32 v27, v5, v6
	v_sub_f16_e32 v29, v33, v36
	;; [unrolled: 1-line block ×3, first 2 shown]
	v_fmac_f16_e32 v51, 0x3b9c, v10
	v_add_f16_e32 v9, v9, v36
	v_add_f16_e32 v42, v33, v37
	v_fmac_f16_e32 v11, 0xb8b4, v27
	v_add_f16_e32 v29, v29, v41
	v_fmac_f16_e32 v51, 0x38b4, v27
	v_lshrrev_b32_e32 v90, 16, v28
	v_add_f16_e32 v9, v9, v32
	v_fmac_f16_e32 v28, -0.5, v42
	v_fmac_f16_e32 v11, 0x34f2, v29
	v_fmac_f16_e32 v51, 0x34f2, v29
	v_add_f16_e32 v29, v5, v6
	v_sub_f16_e32 v41, v36, v33
	v_sub_f16_e32 v42, v32, v37
	v_fmac_f16_e32 v34, 0x34f2, v8
	v_fmac_f16_e32 v69, 0x34f2, v8
	v_add_f16_e32 v8, v9, v37
	v_fmamk_f16 v9, v27, 0x3b9c, v28
	v_fmac_f16_e32 v28, 0xbb9c, v27
	v_fma_f16 v27, -0.5, v29, v90
	v_sub_f16_e32 v29, v33, v37
	v_add_f16_e32 v33, v41, v42
	v_add_f16_e32 v41, v4, v7
	v_add_f16_e32 v92, v90, v4
	v_fmac_f16_e32 v9, 0xb8b4, v10
	v_fmac_f16_e32 v28, 0x38b4, v10
	v_sub_f16_e32 v32, v36, v32
	v_fmac_f16_e32 v90, -0.5, v41
	v_add_f16_e32 v10, v92, v5
	v_fmamk_f16 v37, v29, 0x3b9c, v27
	v_fmac_f16_e32 v9, 0x34f2, v33
	v_fmac_f16_e32 v28, 0x34f2, v33
	v_sub_f16_e32 v33, v4, v5
	v_sub_f16_e32 v36, v7, v6
	v_fmac_f16_e32 v27, 0xbb9c, v29
	v_fmamk_f16 v41, v32, 0xbb9c, v90
	v_sub_f16_e32 v4, v5, v4
	v_sub_f16_e32 v5, v6, v7
	v_fmac_f16_e32 v90, 0x3b9c, v32
	v_add_f16_e32 v10, v10, v6
	v_fmac_f16_e32 v37, 0x38b4, v32
	v_add_f16_e32 v6, v33, v36
	v_fmac_f16_e32 v27, 0xb8b4, v32
	v_fmac_f16_e32 v41, 0x38b4, v29
	v_add_f16_e32 v4, v4, v5
	v_fmac_f16_e32 v90, 0xb8b4, v29
	v_fmac_f16_e32 v37, 0x34f2, v6
	v_fmac_f16_e32 v27, 0x34f2, v6
	v_pack_b32_f16 v6, v38, v43
	v_fmac_f16_e32 v41, 0x34f2, v4
	v_fmac_f16_e32 v90, 0x34f2, v4
	v_pack_b32_f16 v4, v35, v39
	v_add_f16_e32 v5, v10, v7
	v_pack_b32_f16 v7, v70, v44
	v_pack_b32_f16 v10, v25, v40
	;; [unrolled: 1-line block ×5, first 2 shown]
	ds_write2_b32 v100, v4, v6 offset1:27
	ds_write2_b32 v100, v7, v10 offset0:54 offset1:81
	ds_write_b32 v100, v25 offset:432
	ds_write2_b32 v99, v12, v15 offset1:27
	v_pack_b32_f16 v4, v13, v34
	v_pack_b32_f16 v6, v26, v69
	v_pack_b32_f16 v7, v14, v91
	v_pack_b32_f16 v5, v8, v5
	v_pack_b32_f16 v8, v11, v37
	v_pack_b32_f16 v9, v9, v41
	v_pack_b32_f16 v10, v28, v90
	v_pack_b32_f16 v11, v51, v27
	ds_write2_b32 v99, v4, v6 offset0:54 offset1:81
	ds_write_b32 v99, v7 offset:432
	ds_write2_b32 v98, v5, v8 offset1:27
	ds_write2_b32 v98, v9, v10 offset0:54 offset1:81
	ds_write_b32 v98, v11 offset:432
	s_waitcnt lgkmcnt(0)
	s_barrier
	buffer_gl0_inv
	ds_read2_b32 v[4:5], v71 offset1:63
	ds_read2_b32 v[25:26], v71 offset0:135 offset1:198
	ds_read2_b32 v[10:11], v67 offset0:14 offset1:77
	;; [unrolled: 1-line block ×6, first 2 shown]
	s_and_saveexec_b32 s0, vcc_lo
	s_cbranch_execz .LBB0_7
; %bb.6:
	v_add_nc_u32_e32 v27, 0x100, v71
	ds_read2_b32 v[53:54], v65 offset0:12 offset1:147
	ds_read2_b32 v[55:56], v64 offset0:26 offset1:161
	;; [unrolled: 1-line block ×3, first 2 shown]
	ds_read_b32 v62, v71 offset:3744
	s_waitcnt lgkmcnt(3)
	v_lshrrev_b32_e32 v58, 16, v53
	v_lshrrev_b32_e32 v57, 16, v54
	s_waitcnt lgkmcnt(2)
	v_lshrrev_b32_e32 v59, 16, v55
	v_lshrrev_b32_e32 v61, 16, v56
	;; [unrolled: 3-line block ×3, first 2 shown]
	s_waitcnt lgkmcnt(0)
	v_lshrrev_b32_e32 v63, 16, v62
.LBB0_7:
	s_or_b32 exec_lo, exec_lo, s0
	s_waitcnt lgkmcnt(5)
	v_lshrrev_b32_e32 v28, 16, v25
	s_waitcnt lgkmcnt(4)
	v_lshrrev_b32_e32 v29, 16, v10
	;; [unrolled: 2-line block ×4, first 2 shown]
	v_mul_f16_sdwa v40, v20, v25 dst_sel:DWORD dst_unused:UNUSED_PAD src0_sel:WORD_1 src1_sel:DWORD
	v_mul_f16_sdwa v39, v20, v28 dst_sel:DWORD dst_unused:UNUSED_PAD src0_sel:WORD_1 src1_sel:DWORD
	;; [unrolled: 1-line block ×4, first 2 shown]
	s_waitcnt lgkmcnt(1)
	v_lshrrev_b32_e32 v32, 16, v6
	s_waitcnt lgkmcnt(0)
	v_lshrrev_b32_e32 v33, 16, v8
	v_lshrrev_b32_e32 v34, 16, v26
	v_fmac_f16_e32 v39, v20, v25
	v_fma_f16 v20, v20, v28, -v40
	v_fmac_f16_e32 v41, v21, v10
	v_fma_f16 v10, v21, v29, -v42
	v_mul_f16_sdwa v21, v22, v30 dst_sel:DWORD dst_unused:UNUSED_PAD src0_sel:WORD_1 src1_sel:DWORD
	v_mul_f16_sdwa v25, v22, v14 dst_sel:DWORD dst_unused:UNUSED_PAD src0_sel:WORD_1 src1_sel:DWORD
	;; [unrolled: 1-line block ×4, first 2 shown]
	v_lshrrev_b32_e32 v35, 16, v11
	v_lshrrev_b32_e32 v36, 16, v15
	;; [unrolled: 1-line block ×3, first 2 shown]
	v_mul_f16_sdwa v40, v47, v32 dst_sel:DWORD dst_unused:UNUSED_PAD src0_sel:WORD_1 src1_sel:DWORD
	v_fmac_f16_e32 v21, v22, v14
	v_fma_f16 v14, v22, v30, -v25
	v_fmac_f16_e32 v28, v23, v12
	v_fma_f16 v12, v23, v31, -v29
	v_mul_f16_sdwa v22, v48, v33 dst_sel:DWORD dst_unused:UNUSED_PAD src0_sel:WORD_1 src1_sel:DWORD
	v_mul_f16_sdwa v23, v48, v8 dst_sel:DWORD dst_unused:UNUSED_PAD src0_sel:WORD_1 src1_sel:DWORD
	;; [unrolled: 1-line block ×4, first 2 shown]
	v_lshrrev_b32_e32 v38, 16, v7
	v_lshrrev_b32_e32 v43, 16, v9
	v_fmac_f16_e32 v40, v47, v6
	v_mul_f16_sdwa v6, v47, v6 dst_sel:DWORD dst_unused:UNUSED_PAD src0_sel:WORD_1 src1_sel:DWORD
	v_fmac_f16_e32 v22, v48, v8
	v_fma_f16 v8, v48, v33, -v23
	v_fmac_f16_e32 v25, v16, v26
	v_fma_f16 v16, v16, v34, -v29
	v_mul_f16_sdwa v23, v17, v35 dst_sel:DWORD dst_unused:UNUSED_PAD src0_sel:WORD_1 src1_sel:DWORD
	v_mul_f16_sdwa v26, v17, v11 dst_sel:DWORD dst_unused:UNUSED_PAD src0_sel:WORD_1 src1_sel:DWORD
	;; [unrolled: 1-line block ×5, first 2 shown]
	v_fma_f16 v6, v47, v32, -v6
	v_fmac_f16_e32 v23, v17, v11
	v_fma_f16 v11, v17, v35, -v26
	v_fmac_f16_e32 v29, v18, v15
	;; [unrolled: 2-line block ×3, first 2 shown]
	v_mul_f16_sdwa v13, v19, v13 dst_sel:DWORD dst_unused:UNUSED_PAD src0_sel:WORD_1 src1_sel:DWORD
	v_mul_f16_sdwa v17, v49, v38 dst_sel:DWORD dst_unused:UNUSED_PAD src0_sel:WORD_1 src1_sel:DWORD
	;; [unrolled: 1-line block ×5, first 2 shown]
	v_fma_f16 v13, v19, v37, -v13
	v_fmac_f16_e32 v17, v49, v7
	v_fma_f16 v7, v49, v38, -v18
	v_fmac_f16_e32 v26, v50, v9
	v_fma_f16 v9, v50, v43, -v30
	v_add_f16_e32 v18, v39, v22
	v_add_f16_e32 v19, v20, v8
	v_sub_f16_e32 v8, v20, v8
	v_add_f16_e32 v20, v41, v40
	v_add_f16_e32 v30, v10, v6
	v_sub_f16_e32 v22, v39, v22
	v_sub_f16_e32 v32, v41, v40
	;; [unrolled: 1-line block ×3, first 2 shown]
	v_add_f16_e32 v10, v21, v28
	v_add_f16_e32 v33, v14, v12
	v_sub_f16_e32 v21, v28, v21
	v_sub_f16_e32 v12, v12, v14
	v_add_f16_e32 v14, v20, v18
	v_add_f16_e32 v28, v30, v19
	v_sub_f16_e32 v34, v20, v18
	v_sub_f16_e32 v35, v30, v19
	;; [unrolled: 1-line block ×6, first 2 shown]
	v_add_f16_e32 v36, v21, v32
	v_add_f16_e32 v37, v12, v6
	v_sub_f16_e32 v38, v21, v32
	v_sub_f16_e32 v39, v12, v6
	;; [unrolled: 1-line block ×3, first 2 shown]
	v_add_f16_e32 v10, v10, v14
	v_add_f16_e32 v14, v33, v28
	v_sub_f16_e32 v6, v6, v8
	v_sub_f16_e32 v21, v22, v21
	;; [unrolled: 1-line block ×3, first 2 shown]
	v_add_f16_e32 v22, v36, v22
	v_add_f16_e32 v8, v37, v8
	;; [unrolled: 1-line block ×3, first 2 shown]
	v_add_f16_sdwa v4, v4, v14 dst_sel:DWORD dst_unused:UNUSED_PAD src0_sel:WORD_1 src1_sel:DWORD
	v_mul_f16_e32 v18, 0x3a52, v18
	v_mul_f16_e32 v19, 0x3a52, v19
	;; [unrolled: 1-line block ×8, first 2 shown]
	v_fmamk_f16 v10, v10, 0xbcab, v28
	v_fmamk_f16 v14, v14, 0xbcab, v4
	;; [unrolled: 1-line block ×4, first 2 shown]
	v_fma_f16 v33, v34, 0x39e0, -v33
	v_fma_f16 v36, v35, 0x39e0, -v36
	;; [unrolled: 1-line block ×4, first 2 shown]
	v_fmamk_f16 v34, v21, 0xb574, v37
	v_fmamk_f16 v35, v12, 0xb574, v38
	v_fma_f16 v21, v21, 0x3574, -v39
	v_fma_f16 v12, v12, 0x3574, -v40
	;; [unrolled: 1-line block ×4, first 2 shown]
	v_add_f16_e32 v20, v20, v10
	v_add_f16_e32 v30, v30, v14
	;; [unrolled: 1-line block ×6, first 2 shown]
	v_fmac_f16_e32 v34, 0xb70e, v22
	v_fmac_f16_e32 v35, 0xb70e, v8
	;; [unrolled: 1-line block ×6, first 2 shown]
	v_add_f16_e32 v8, v35, v20
	v_sub_f16_e32 v18, v30, v34
	v_add_f16_e32 v19, v12, v10
	v_sub_f16_e32 v22, v14, v21
	v_sub_f16_e32 v10, v10, v12
	v_add_f16_e32 v12, v21, v14
	v_sub_f16_e32 v14, v20, v35
	v_add_f16_e32 v20, v34, v30
	v_add_f16_e32 v21, v25, v26
	;; [unrolled: 1-line block ×3, first 2 shown]
	v_sub_f16_e32 v25, v25, v26
	v_sub_f16_e32 v9, v16, v9
	v_add_f16_e32 v16, v23, v17
	v_add_f16_e32 v26, v11, v7
	v_sub_f16_e32 v17, v23, v17
	v_sub_f16_e32 v7, v11, v7
	v_add_f16_e32 v11, v29, v31
	v_add_f16_e32 v23, v15, v13
	;; [unrolled: 4-line block ×3, first 2 shown]
	v_sub_f16_e32 v37, v33, v6
	v_add_f16_e32 v38, v32, v36
	v_add_f16_e32 v6, v6, v33
	v_sub_f16_e32 v32, v36, v32
	v_sub_f16_e32 v33, v16, v21
	;; [unrolled: 1-line block ×7, first 2 shown]
	v_add_f16_e32 v35, v29, v17
	v_add_f16_e32 v36, v13, v7
	v_sub_f16_e32 v39, v29, v17
	v_sub_f16_e32 v40, v13, v7
	;; [unrolled: 1-line block ×3, first 2 shown]
	v_add_f16_e32 v11, v11, v15
	v_add_f16_e32 v15, v23, v31
	v_sub_f16_e32 v7, v7, v9
	v_sub_f16_e32 v29, v25, v29
	;; [unrolled: 1-line block ×3, first 2 shown]
	v_add_f16_e32 v23, v35, v25
	v_add_f16_e32 v9, v36, v9
	;; [unrolled: 1-line block ×3, first 2 shown]
	v_add_f16_sdwa v5, v5, v15 dst_sel:DWORD dst_unused:UNUSED_PAD src0_sel:WORD_1 src1_sel:DWORD
	v_mul_f16_e32 v21, 0x3a52, v21
	v_mul_f16_e32 v30, 0x3a52, v30
	;; [unrolled: 1-line block ×8, first 2 shown]
	v_fmamk_f16 v11, v11, 0xbcab, v25
	v_fmamk_f16 v15, v15, 0xbcab, v5
	;; [unrolled: 1-line block ×4, first 2 shown]
	v_fma_f16 v31, v33, 0x39e0, -v31
	v_fma_f16 v35, v34, 0x39e0, -v35
	;; [unrolled: 1-line block ×4, first 2 shown]
	v_fmamk_f16 v33, v29, 0xb574, v36
	v_fmamk_f16 v34, v13, 0xb574, v39
	v_fma_f16 v29, v29, 0x3574, -v40
	v_fma_f16 v13, v13, 0x3574, -v41
	;; [unrolled: 1-line block ×4, first 2 shown]
	v_add_f16_e32 v16, v16, v11
	v_add_f16_e32 v26, v26, v15
	;; [unrolled: 1-line block ×6, first 2 shown]
	v_fmac_f16_e32 v34, 0xb70e, v9
	v_fmac_f16_e32 v13, 0xb70e, v9
	;; [unrolled: 1-line block ×6, first 2 shown]
	v_pack_b32_f16 v8, v8, v18
	v_add_f16_e32 v9, v34, v16
	v_add_f16_e32 v23, v13, v11
	v_sub_f16_e32 v30, v15, v29
	v_sub_f16_e32 v11, v11, v13
	v_add_f16_e32 v13, v29, v15
	v_sub_f16_e32 v15, v16, v34
	v_pack_b32_f16 v16, v19, v22
	v_pack_b32_f16 v18, v37, v38
	v_sub_f16_e32 v21, v26, v33
	v_pack_b32_f16 v6, v6, v32
	v_sub_f16_e32 v36, v31, v7
	v_add_f16_e32 v39, v17, v35
	ds_write_b32 v71, v8 offset:540
	ds_write_b32 v71, v16 offset:1080
	;; [unrolled: 1-line block ×3, first 2 shown]
	v_pack_b32_f16 v8, v10, v12
	v_add_f16_e32 v7, v7, v31
	v_sub_f16_e32 v17, v35, v17
	v_pack_b32_f16 v10, v14, v20
	v_pack_b32_f16 v4, v28, v4
	v_pack_b32_f16 v5, v25, v5
	v_add_f16_e32 v19, v33, v26
	v_pack_b32_f16 v9, v9, v21
	ds_write_b32 v71, v6 offset:2160
	ds_write_b32 v71, v8 offset:2700
	;; [unrolled: 1-line block ×3, first 2 shown]
	ds_write2_b32 v71, v4, v5 offset1:63
	ds_write_b32 v71, v9 offset:792
	v_pack_b32_f16 v4, v23, v30
	v_pack_b32_f16 v5, v36, v39
	;; [unrolled: 1-line block ×5, first 2 shown]
	ds_write_b32 v71, v4 offset:1332
	ds_write_b32 v71, v5 offset:1872
	;; [unrolled: 1-line block ×5, first 2 shown]
	s_and_saveexec_b32 s0, vcc_lo
	s_cbranch_execz .LBB0_9
; %bb.8:
	v_mul_f16_sdwa v4, v0, v60 dst_sel:DWORD dst_unused:UNUSED_PAD src0_sel:WORD_1 src1_sel:DWORD
	v_mul_f16_sdwa v7, v1, v58 dst_sel:DWORD dst_unused:UNUSED_PAD src0_sel:WORD_1 src1_sel:DWORD
	;; [unrolled: 1-line block ×10, first 2 shown]
	v_fmac_f16_e32 v7, v1, v53
	v_fmac_f16_e32 v4, v0, v52
	v_fma_f16 v12, v46, v63, -v12
	v_fma_f16 v0, v0, v60, -v15
	v_mul_f16_sdwa v15, v2, v54 dst_sel:DWORD dst_unused:UNUSED_PAD src0_sel:WORD_1 src1_sel:DWORD
	v_mul_f16_sdwa v19, v3, v55 dst_sel:DWORD dst_unused:UNUSED_PAD src0_sel:WORD_1 src1_sel:DWORD
	v_fma_f16 v17, v45, v61, -v17
	v_fma_f16 v1, v1, v58, -v18
	v_fmac_f16_e32 v5, v3, v55
	v_fmac_f16_e32 v6, v2, v54
	;; [unrolled: 1-line block ×4, first 2 shown]
	v_add_f16_e32 v18, v12, v0
	v_fma_f16 v2, v2, v57, -v15
	v_fma_f16 v3, v3, v59, -v19
	v_add_f16_e32 v15, v17, v1
	v_sub_f16_e32 v11, v7, v8
	v_sub_f16_e32 v13, v4, v9
	v_add_f16_e32 v4, v9, v4
	v_add_f16_e32 v20, v2, v3
	;; [unrolled: 1-line block ×4, first 2 shown]
	v_sub_f16_e32 v10, v5, v6
	v_add_f16_e32 v5, v6, v5
	v_sub_f16_e32 v22, v18, v20
	v_add_f16_e32 v21, v20, v21
	;; [unrolled: 2-line block ×3, first 2 shown]
	v_sub_f16_e32 v23, v4, v5
	v_sub_f16_e32 v2, v3, v2
	;; [unrolled: 1-line block ×4, first 2 shown]
	v_add_f16_e32 v20, v5, v20
	v_sub_f16_e32 v14, v10, v11
	v_mul_f16_e32 v3, 0x3a52, v23
	v_sub_f16_e32 v5, v5, v7
	v_sub_f16_e32 v12, v2, v1
	v_add_f16_e32 v17, v51, v20
	v_sub_f16_e32 v16, v13, v10
	v_add_f16_e32 v10, v10, v11
	v_mul_f16_e32 v9, 0x3a52, v22
	v_sub_f16_e32 v25, v0, v2
	v_sub_f16_e32 v11, v11, v13
	v_add_f16_e32 v2, v2, v1
	v_sub_f16_e32 v15, v15, v18
	v_sub_f16_e32 v1, v1, v0
	v_mul_f16_e32 v14, 0x3846, v14
	v_add_f16_e32 v6, v27, v21
	v_mul_f16_e32 v22, 0x2b26, v8
	v_fmamk_f16 v23, v5, 0x2b26, v3
	v_fmamk_f16 v20, v20, 0xbcab, v17
	v_mul_f16_e32 v12, 0x3846, v12
	v_fmamk_f16 v8, v8, 0x2b26, v9
	v_mul_f16_e32 v5, 0x2b26, v5
	v_mul_f16_e32 v27, 0xbb00, v11
	v_sub_f16_e32 v4, v7, v4
	v_fma_f16 v7, v15, 0xb9e0, -v9
	v_mul_f16_e32 v9, 0xbb00, v1
	v_fmamk_f16 v19, v16, 0xb574, v14
	v_add_f16_e32 v10, v10, v13
	v_fmamk_f16 v21, v21, 0xbcab, v6
	v_add_f16_e32 v13, v23, v20
	;; [unrolled: 2-line block ×3, first 2 shown]
	v_fma_f16 v15, v15, 0x39e0, -v22
	v_fma_f16 v11, v11, 0xbb00, -v14
	;; [unrolled: 1-line block ×7, first 2 shown]
	v_fmac_f16_e32 v19, 0xb70e, v10
	v_add_f16_e32 v8, v8, v21
	v_fmac_f16_e32 v23, 0xb70e, v0
	v_add_f16_e32 v5, v15, v21
	v_fmac_f16_e32 v11, 0xb70e, v10
	v_fmac_f16_e32 v2, 0xb70e, v10
	v_add_f16_e32 v7, v7, v21
	v_add_f16_e32 v3, v3, v20
	v_fmac_f16_e32 v9, 0xb70e, v0
	v_fmac_f16_e32 v1, 0xb70e, v0
	v_add_f16_e32 v0, v4, v20
	v_add_f16_e32 v26, v19, v8
	v_sub_f16_e32 v14, v5, v11
	v_add_f16_e32 v5, v11, v5
	v_sub_f16_e32 v8, v8, v19
	v_add_f16_e32 v11, v23, v13
	v_add_f16_e32 v10, v2, v7
	v_sub_f16_e32 v12, v3, v9
	v_add_f16_e32 v15, v1, v0
	v_sub_f16_e32 v2, v7, v2
	;; [unrolled: 2-line block ×3, first 2 shown]
	v_sub_f16_e32 v4, v13, v23
	v_pack_b32_f16 v1, v17, v6
	v_pack_b32_f16 v6, v11, v8
	v_add_nc_u32_e32 v7, 0x100, v71
	v_pack_b32_f16 v2, v3, v2
	v_pack_b32_f16 v0, v0, v5
	v_add_nc_u32_e32 v3, 0x600, v71
	;; [unrolled: 3-line block ×3, first 2 shown]
	v_pack_b32_f16 v4, v4, v26
	ds_write2_b32 v7, v1, v6 offset0:62 offset1:197
	ds_write2_b32 v3, v2, v0 offset0:12 offset1:147
	;; [unrolled: 1-line block ×3, first 2 shown]
	ds_write_b32 v71, v4 offset:3744
.LBB0_9:
	s_or_b32 exec_lo, exec_lo, s0
	s_waitcnt lgkmcnt(0)
	s_barrier
	buffer_gl0_inv
	ds_read2_b32 v[4:5], v71 offset1:63
	v_add_nc_u32_e32 v0, 0x200, v71
	v_add_nc_u32_e32 v2, 0x800, v71
	ds_read2_b32 v[0:1], v0 offset0:124 offset1:187
	ds_read2_b32 v[2:3], v2 offset0:118 offset1:181
	s_mov_b32 s6, 0xbc011567
	s_mov_b32 s7, 0x3f51566a
	v_mad_u64_u32 v[12:13], null, s10, v24, 0
	s_waitcnt lgkmcnt(2)
	v_lshrrev_b32_e32 v6, 16, v4
	v_mul_f16_sdwa v7, v86, v4 dst_sel:DWORD dst_unused:UNUSED_PAD src0_sel:WORD_1 src1_sel:DWORD
	v_mul_f16_sdwa v8, v86, v6 dst_sel:DWORD dst_unused:UNUSED_PAD src0_sel:WORD_1 src1_sel:DWORD
	v_fma_f16 v6, v86, v6, -v7
	s_waitcnt lgkmcnt(1)
	v_lshrrev_b32_e32 v9, 16, v1
	v_mul_f16_sdwa v10, v87, v1 dst_sel:DWORD dst_unused:UNUSED_PAD src0_sel:WORD_1 src1_sel:DWORD
	s_waitcnt lgkmcnt(0)
	v_lshrrev_b32_e32 v23, 16, v2
	v_fmac_f16_e32 v8, v86, v4
	v_cvt_f32_f16_e32 v4, v6
	v_mul_f16_sdwa v14, v87, v9 dst_sel:DWORD dst_unused:UNUSED_PAD src0_sel:WORD_1 src1_sel:DWORD
	v_mul_f16_sdwa v15, v84, v23 dst_sel:DWORD dst_unused:UNUSED_PAD src0_sel:WORD_1 src1_sel:DWORD
	v_cvt_f32_f16_e32 v8, v8
	v_cvt_f64_f32_e32 v[6:7], v4
	v_fma_f16 v4, v87, v9, -v10
	v_fmac_f16_e32 v14, v87, v1
	v_fmac_f16_e32 v15, v84, v2
	v_cvt_f64_f32_e32 v[8:9], v8
	v_cvt_f32_f16_e32 v4, v4
	v_cvt_f32_f16_e32 v1, v14
	v_cvt_f64_f32_e32 v[10:11], v4
	v_cvt_f64_f32_e32 v[16:17], v1
	v_mov_b32_e32 v1, v13
	v_cvt_f32_f16_e32 v4, v15
	v_mad_u64_u32 v[14:15], null, s8, v85, 0
	v_mad_u64_u32 v[20:21], null, s11, v24, v[1:2]
	v_cvt_f64_f32_e32 v[18:19], v4
	v_mul_f64 v[6:7], v[6:7], s[6:7]
	v_mov_b32_e32 v4, v15
	v_mul_f64 v[8:9], v[8:9], s[6:7]
	v_mov_b32_e32 v13, v20
	v_mad_u64_u32 v[21:22], null, s9, v85, v[4:5]
	v_mul_f16_sdwa v4, v84, v2 dst_sel:DWORD dst_unused:UNUSED_PAD src0_sel:WORD_1 src1_sel:DWORD
	v_lshlrev_b64 v[1:2], 2, v[12:13]
	v_mul_f64 v[10:11], v[10:11], s[6:7]
	v_mul_f64 v[12:13], v[16:17], s[6:7]
	v_fma_f16 v4, v84, v23, -v4
	v_mov_b32_e32 v15, v21
	v_cvt_f32_f16_e32 v4, v4
	v_mul_f64 v[16:17], v[18:19], s[6:7]
	v_and_or_b32 v6, 0x1ff, v7, v6
	v_lshrrev_b32_e32 v18, 8, v7
	v_bfe_u32 v19, v7, 20, 11
	v_lshrrev_b32_e32 v7, 16, v7
	v_and_or_b32 v8, 0x1ff, v9, v8
	v_cmp_ne_u32_e32 vcc_lo, 0, v6
	v_lshrrev_b32_e32 v20, 8, v9
	v_bfe_u32 v21, v9, 20, 11
	v_sub_nc_u32_e32 v22, 0x3f1, v19
	v_add_nc_u32_e32 v19, 0xfffffc10, v19
	v_cndmask_b32_e64 v6, 0, 1, vcc_lo
	v_and_or_b32 v10, 0x1ff, v11, v10
	v_cmp_ne_u32_e32 vcc_lo, 0, v8
	v_bfe_u32 v25, v11, 20, 11
	v_lshrrev_b32_e32 v24, 8, v11
	v_sub_nc_u32_e32 v26, 0x3f1, v21
	v_and_or_b32 v6, 0xffe, v18, v6
	v_cndmask_b32_e64 v8, 0, 1, vcc_lo
	v_cmp_ne_u32_e32 vcc_lo, 0, v10
	v_sub_nc_u32_e32 v28, 0x3f1, v25
	v_and_or_b32 v12, 0x1ff, v13, v12
	v_med3_i32 v18, v22, 0, 13
	v_and_or_b32 v8, 0xffe, v20, v8
	v_cndmask_b32_e64 v10, 0, 1, vcc_lo
	v_med3_i32 v20, v26, 0, 13
	v_cmp_ne_u32_e32 vcc_lo, 0, v6
	v_or_b32_e32 v26, 0x1000, v6
	v_lshl_or_b32 v29, v19, 12, v6
	v_and_or_b32 v10, 0xffe, v24, v10
	v_med3_i32 v24, v28, 0, 13
	v_or_b32_e32 v28, 0x1000, v8
	v_cndmask_b32_e64 v6, 0, 1, vcc_lo
	v_cmp_ne_u32_e32 vcc_lo, 0, v12
	v_add_nc_u32_e32 v21, 0xfffffc10, v21
	v_lshrrev_b32_e32 v32, v18, v26
	v_lshrrev_b32_e32 v33, v20, v28
	;; [unrolled: 1-line block ×3, first 2 shown]
	v_cndmask_b32_e64 v12, 0, 1, vcc_lo
	v_cmp_ne_u32_e32 vcc_lo, 0, v8
	v_bfe_u32 v27, v13, 20, 11
	v_lshlrev_b32_e32 v20, v20, v33
	v_lshl_or_b32 v31, v21, 12, v8
	v_lshlrev_b32_e32 v18, v18, v32
	v_cndmask_b32_e64 v8, 0, 1, vcc_lo
	v_sub_nc_u32_e32 v30, 0x3f1, v27
	v_cmp_ne_u32_e32 vcc_lo, v20, v28
	v_and_or_b32 v12, 0xffe, v22, v12
	v_add_nc_u32_e32 v27, 0xfffffc10, v27
	v_lshl_or_b32 v8, v8, 9, 0x7c00
	v_med3_i32 v22, v30, 0, 13
	v_cndmask_b32_e64 v20, 0, 1, vcc_lo
	v_cmp_ne_u32_e32 vcc_lo, v18, v26
	v_or_b32_e32 v35, 0x1000, v12
	v_or_b32_e32 v30, 0x1000, v10
	v_lshl_or_b32 v28, v27, 12, v12
	v_or_b32_e32 v20, v33, v20
	v_cndmask_b32_e64 v18, 0, 1, vcc_lo
	v_cmp_gt_i32_e32 vcc_lo, 1, v21
	v_lshrrev_b32_e32 v26, v22, v35
	v_lshrrev_b32_e32 v33, v24, v30
	v_cmp_gt_i32_e64 s3, 1, v27
	v_or_b32_e32 v18, v32, v18
	v_cndmask_b32_e32 v20, v31, v20, vcc_lo
	v_cmp_gt_i32_e32 vcc_lo, 1, v19
	v_lshlrev_b32_e32 v22, v22, v26
	v_lshlrev_b32_e32 v24, v24, v33
	v_lshl_or_b32 v6, v6, 9, 0x7c00
	v_lshrrev_b32_e32 v9, 16, v9
	v_cndmask_b32_e32 v18, v29, v18, vcc_lo
	v_cmp_ne_u32_e32 vcc_lo, v22, v35
	v_and_b32_e32 v29, 7, v20
	v_lshrrev_b32_e32 v20, 2, v20
	v_add_nc_u32_e32 v25, 0xfffffc10, v25
	v_and_b32_e32 v31, 7, v18
	v_cndmask_b32_e64 v22, 0, 1, vcc_lo
	v_cmp_lt_i32_e32 vcc_lo, 5, v29
	v_cmp_eq_u32_e64 s0, 3, v29
	v_lshrrev_b32_e32 v18, 2, v18
	v_cmp_lt_i32_e64 s1, 5, v31
	v_cmp_eq_u32_e64 s2, 3, v31
	v_or_b32_e32 v22, v26, v22
	s_or_b32 vcc_lo, s0, vcc_lo
	v_lshl_or_b32 v34, v25, 12, v10
	v_add_co_ci_u32_e32 v20, vcc_lo, 0, v20, vcc_lo
	s_or_b32 vcc_lo, s2, s1
	v_cndmask_b32_e64 v22, v28, v22, s3
	v_add_co_ci_u32_e32 v18, vcc_lo, 0, v18, vcc_lo
	v_cmp_gt_i32_e32 vcc_lo, 31, v21
	s_mul_hi_u32 s2, s8, 0x4ec
	v_and_b32_e32 v26, 7, v22
	s_mul_i32 s3, s8, 0x4ec
	v_cndmask_b32_e32 v20, 0x7c00, v20, vcc_lo
	v_cmp_gt_i32_e32 vcc_lo, 31, v19
	v_cmp_eq_u32_e64 s0, 3, v26
	v_cndmask_b32_e32 v18, 0x7c00, v18, vcc_lo
	v_cmp_eq_u32_e32 vcc_lo, 0x40f, v21
	v_cndmask_b32_e32 v8, v20, v8, vcc_lo
	v_cmp_ne_u32_e32 vcc_lo, v24, v30
	v_and_or_b32 v8, 0x8000, v9, v8
	v_cndmask_b32_e64 v20, 0, 1, vcc_lo
	v_cmp_eq_u32_e32 vcc_lo, 0x40f, v19
	v_lshrrev_b32_e32 v9, 2, v22
	v_cndmask_b32_e32 v6, v18, v6, vcc_lo
	v_cmp_lt_i32_e32 vcc_lo, 5, v26
	v_and_or_b32 v6, 0x8000, v7, v6
	s_or_b32 vcc_lo, s0, vcc_lo
	v_and_b32_e32 v7, 0xffff, v8
	v_add_co_ci_u32_e32 v9, vcc_lo, 0, v9, vcc_lo
	v_cmp_ne_u32_e32 vcc_lo, 0, v12
	v_or_b32_e32 v8, v33, v20
	v_lshl_or_b32 v18, v6, 16, v7
	v_cndmask_b32_e64 v6, 0, 1, vcc_lo
	v_cmp_gt_i32_e32 vcc_lo, 1, v25
	v_lshl_or_b32 v12, v6, 9, 0x7c00
	v_cndmask_b32_e32 v8, v34, v8, vcc_lo
	v_cmp_gt_i32_e32 vcc_lo, 31, v27
	v_cvt_f64_f32_e32 v[6:7], v4
	v_and_b32_e32 v19, 7, v8
	v_cndmask_b32_e32 v9, 0x7c00, v9, vcc_lo
	v_add_co_u32 v4, vcc_lo, s4, v1
	v_add_co_ci_u32_e32 v20, vcc_lo, s5, v2, vcc_lo
	v_cmp_eq_u32_e32 vcc_lo, 0x40f, v27
	v_cmp_eq_u32_e64 s0, 3, v19
	v_lshrrev_b32_e32 v8, 2, v8
	v_lshlrev_b64 v[1:2], 2, v[14:15]
	v_bfe_u32 v14, v17, 20, 11
	v_cndmask_b32_e32 v9, v9, v12, vcc_lo
	v_cmp_lt_i32_e32 vcc_lo, 5, v19
	v_lshrrev_b32_e32 v12, 16, v13
	v_lshrrev_b32_e32 v13, 8, v17
	;; [unrolled: 1-line block ×3, first 2 shown]
	s_mul_i32 s5, s8, 0xfffff724
	s_or_b32 vcc_lo, s0, vcc_lo
	v_and_or_b32 v9, 0x8000, v12, v9
	v_add_co_ci_u32_e32 v8, vcc_lo, 0, v8, vcc_lo
	v_and_or_b32 v12, 0x1ff, v17, v16
	v_cmp_ne_u32_e32 vcc_lo, 0, v10
	v_mul_f64 v[6:7], v[6:7], s[6:7]
	v_mul_f16_sdwa v16, v83, v15 dst_sel:DWORD dst_unused:UNUSED_PAD src0_sel:WORD_1 src1_sel:DWORD
	s_mul_i32 s0, s9, 0x4ec
	v_cndmask_b32_e64 v10, 0, 1, vcc_lo
	v_cmp_ne_u32_e32 vcc_lo, 0, v12
	v_fmac_f16_e32 v16, v83, v5
	v_mul_f16_sdwa v5, v83, v5 dst_sel:DWORD dst_unused:UNUSED_PAD src0_sel:WORD_1 src1_sel:DWORD
	s_add_i32 s2, s2, s0
	v_lshl_or_b32 v10, v10, 9, 0x7c00
	v_cndmask_b32_e64 v12, 0, 1, vcc_lo
	v_cmp_gt_i32_e32 vcc_lo, 31, v25
	v_fma_f16 v5, v83, v15, -v5
	v_and_or_b32 v12, 0xffe, v13, v12
	v_cndmask_b32_e32 v8, 0x7c00, v8, vcc_lo
	v_sub_nc_u32_e32 v13, 0x3f1, v14
	v_cmp_eq_u32_e32 vcc_lo, 0x40f, v25
	v_add_nc_u32_e32 v14, 0xfffffc10, v14
	v_med3_i32 v13, v13, 0, 13
	v_cndmask_b32_e32 v8, v8, v10, vcc_lo
	v_lshrrev_b32_e32 v10, 16, v11
	v_or_b32_e32 v11, 0x1000, v12
	v_add_co_u32 v1, vcc_lo, v4, v1
	v_add_co_ci_u32_e32 v2, vcc_lo, v20, v2, vcc_lo
	v_and_or_b32 v4, 0x8000, v10, v8
	v_and_b32_e32 v8, 0xffff, v9
	v_lshrrev_b32_e32 v10, v13, v11
	v_and_or_b32 v6, 0x1ff, v7, v6
	global_store_dword v[1:2], v18, off
	v_lshl_or_b32 v18, v4, 16, v8
	v_lshlrev_b32_e32 v4, v13, v10
	v_cvt_f32_f16_e32 v8, v16
	v_cmp_ne_u32_e32 vcc_lo, 0, v6
	v_lshrrev_b32_e32 v13, 8, v7
	v_bfe_u32 v16, v7, 20, 11
	v_cvt_f64_f32_e32 v[8:9], v8
	v_cndmask_b32_e64 v6, 0, 1, vcc_lo
	v_cmp_ne_u32_e32 vcc_lo, v4, v11
	v_sub_nc_u32_e32 v11, 0x3f1, v16
	v_and_or_b32 v6, 0xffe, v13, v6
	v_cndmask_b32_e64 v4, 0, 1, vcc_lo
	v_cmp_gt_i32_e32 vcc_lo, 1, v14
	v_med3_i32 v11, v11, 0, 13
	v_or_b32_e32 v13, 0x1000, v6
	v_or_b32_e32 v4, v10, v4
	v_lshl_or_b32 v10, v14, 12, v12
	v_lshrrev_b32_e32 v19, v11, v13
	v_cndmask_b32_e32 v15, v10, v4, vcc_lo
	v_cvt_f32_f16_e32 v10, v5
	v_lshlrev_b32_e32 v21, v11, v19
	v_mul_f64 v[4:5], v[8:9], s[6:7]
	v_and_b32_e32 v20, 7, v15
	v_cvt_f64_f32_e32 v[8:9], v10
	v_add_co_u32 v10, vcc_lo, v1, s3
	v_add_co_ci_u32_e32 v11, vcc_lo, s2, v2, vcc_lo
	v_cmp_lt_i32_e32 vcc_lo, 5, v20
	v_cmp_eq_u32_e64 s0, 3, v20
	v_lshrrev_b32_e32 v1, 2, v15
	v_cmp_ne_u32_e64 s1, v21, v13
	v_add_nc_u32_e32 v13, 0xfffffc10, v16
	v_add_nc_u32_e32 v16, 0x400, v71
	s_or_b32 vcc_lo, s0, vcc_lo
	global_store_dword v[10:11], v18, off
	v_add_co_ci_u32_e32 v1, vcc_lo, 0, v1, vcc_lo
	v_cmp_ne_u32_e32 vcc_lo, 0, v12
	v_cndmask_b32_e64 v2, 0, 1, s1
	v_lshl_or_b32 v15, v13, 12, v6
	v_add_co_u32 v10, s1, v10, s3
	v_cndmask_b32_e64 v12, 0, 1, vcc_lo
	v_cmp_gt_i32_e32 vcc_lo, 31, v14
	v_or_b32_e32 v2, v19, v2
	v_mul_f64 v[8:9], v[8:9], s[6:7]
	v_add_co_ci_u32_e64 v11, s1, s2, v11, s1
	v_cndmask_b32_e32 v1, 0x7c00, v1, vcc_lo
	v_cmp_gt_i32_e32 vcc_lo, 1, v13
	v_lshl_or_b32 v12, v12, 9, 0x7c00
	v_cndmask_b32_e32 v15, v15, v2, vcc_lo
	v_and_or_b32 v2, 0x1ff, v5, v4
	v_cmp_eq_u32_e32 vcc_lo, 0x40f, v14
	v_bfe_u32 v14, v5, 20, 11
	v_cndmask_b32_e32 v4, v1, v12, vcc_lo
	v_cmp_ne_u32_e32 vcc_lo, 0, v2
	v_and_b32_e32 v1, 7, v15
	v_lshrrev_b32_e32 v12, 8, v5
	v_lshrrev_b32_e32 v15, 2, v15
	v_sub_nc_u32_e32 v19, 0x3f1, v14
	v_cndmask_b32_e64 v2, 0, 1, vcc_lo
	v_cmp_lt_i32_e32 vcc_lo, 5, v1
	v_cmp_eq_u32_e64 s0, 3, v1
	v_and_or_b32 v8, 0x1ff, v9, v8
	v_med3_i32 v19, v19, 0, 13
	v_and_or_b32 v12, 0xffe, v12, v2
	ds_read2_b32 v[1:2], v16 offset0:122 offset1:185
	s_or_b32 vcc_lo, s0, vcc_lo
	v_lshrrev_b32_e32 v16, 16, v17
	v_add_co_ci_u32_e32 v15, vcc_lo, 0, v15, vcc_lo
	v_or_b32_e32 v17, 0x1000, v12
	v_cmp_gt_i32_e32 vcc_lo, 31, v13
	v_and_or_b32 v4, 0x8000, v16, v4
	v_lshrrev_b32_e32 v20, 8, v9
	v_bfe_u32 v21, v9, 20, 11
	v_lshrrev_b32_e32 v16, v19, v17
	v_cndmask_b32_e32 v15, 0x7c00, v15, vcc_lo
	v_cmp_ne_u32_e32 vcc_lo, 0, v6
	v_add_nc_u32_e32 v14, 0xfffffc10, v14
	v_add_nc_u32_e32 v18, 0xfffffc10, v21
	v_lshlrev_b32_e32 v19, v19, v16
	v_and_b32_e32 v4, 0xffff, v4
	v_cndmask_b32_e64 v6, 0, 1, vcc_lo
	v_cmp_ne_u32_e32 vcc_lo, 0, v8
	v_cmp_eq_u32_e64 s1, 0x40f, v14
	s_waitcnt lgkmcnt(0)
	v_lshrrev_b32_e32 v22, 16, v1
	v_lshrrev_b32_e32 v5, 16, v5
	v_lshl_or_b32 v6, v6, 9, 0x7c00
	v_cndmask_b32_e64 v8, 0, 1, vcc_lo
	v_cmp_ne_u32_e32 vcc_lo, v19, v17
	v_mul_f16_sdwa v19, v82, v22 dst_sel:DWORD dst_unused:UNUSED_PAD src0_sel:WORD_1 src1_sel:DWORD
	v_lshrrev_b32_e32 v9, 16, v9
	v_and_or_b32 v8, 0xffe, v20, v8
	v_cndmask_b32_e64 v17, 0, 1, vcc_lo
	v_sub_nc_u32_e32 v20, 0x3f1, v21
	v_fmac_f16_e32 v19, v82, v1
	v_cmp_gt_i32_e32 vcc_lo, 1, v14
	v_or_b32_e32 v23, 0x1000, v8
	v_or_b32_e32 v16, v16, v17
	v_lshl_or_b32 v17, v14, 12, v12
	v_med3_i32 v20, v20, 0, 13
	v_mul_f16_sdwa v1, v82, v1 dst_sel:DWORD dst_unused:UNUSED_PAD src0_sel:WORD_1 src1_sel:DWORD
	v_cndmask_b32_e32 v16, v17, v16, vcc_lo
	v_cvt_f32_f16_e32 v17, v19
	v_lshrrev_b32_e32 v19, v20, v23
	v_cmp_eq_u32_e32 vcc_lo, 0x40f, v13
	v_fma_f16 v1, v82, v22, -v1
	v_lshlrev_b32_e32 v20, v20, v19
	v_cndmask_b32_e32 v13, v15, v6, vcc_lo
	v_lshrrev_b32_e32 v15, 16, v7
	v_cvt_f64_f32_e32 v[6:7], v17
	v_and_b32_e32 v17, 7, v16
	v_cmp_ne_u32_e64 s0, v20, v23
	v_lshrrev_b32_e32 v16, 2, v16
	v_and_or_b32 v15, 0x8000, v15, v13
	v_cvt_f32_f16_e32 v1, v1
	v_cmp_lt_i32_e32 vcc_lo, 5, v17
	v_cndmask_b32_e64 v13, 0, 1, s0
	v_cmp_eq_u32_e64 s0, 3, v17
	v_lshl_or_b32 v17, v18, 12, v8
	v_or_b32_e32 v13, v19, v13
	s_or_b32 vcc_lo, s0, vcc_lo
	v_add_co_ci_u32_e32 v16, vcc_lo, 0, v16, vcc_lo
	v_cmp_gt_i32_e32 vcc_lo, 1, v18
	v_cndmask_b32_e32 v17, v17, v13, vcc_lo
	v_cmp_ne_u32_e32 vcc_lo, 0, v12
	v_cvt_f64_f32_e32 v[12:13], v1
	v_mul_f64 v[6:7], v[6:7], s[6:7]
	v_lshl_or_b32 v1, v15, 16, v4
	v_and_b32_e32 v20, 7, v17
	v_cndmask_b32_e64 v19, 0, 1, vcc_lo
	v_cmp_gt_i32_e32 vcc_lo, 31, v14
	global_store_dword v[10:11], v1, off
	v_cmp_eq_u32_e64 s0, 3, v20
	v_lshl_or_b32 v15, v19, 9, 0x7c00
	v_cndmask_b32_e32 v4, 0x7c00, v16, vcc_lo
	v_cmp_lt_i32_e32 vcc_lo, 5, v20
	v_lshrrev_b32_e32 v16, 2, v17
	v_cndmask_b32_e64 v4, v4, v15, s1
	s_or_b32 vcc_lo, s0, vcc_lo
	s_mul_hi_u32 s1, s8, 0xfffff724
	v_add_co_ci_u32_e32 v14, vcc_lo, 0, v16, vcc_lo
	v_cmp_ne_u32_e32 vcc_lo, 0, v8
	v_and_or_b32 v4, 0x8000, v5, v4
	v_mul_f64 v[12:13], v[12:13], s[6:7]
	v_and_or_b32 v6, 0x1ff, v7, v6
	v_lshrrev_b32_e32 v15, 8, v7
	v_cndmask_b32_e64 v8, 0, 1, vcc_lo
	v_cmp_gt_i32_e32 vcc_lo, 31, v18
	v_bfe_u32 v16, v7, 20, 11
	v_and_b32_e32 v4, 0xffff, v4
	s_mul_i32 s0, s9, 0xfffff724
	v_lshl_or_b32 v8, v8, 9, 0x7c00
	v_cndmask_b32_e32 v14, 0x7c00, v14, vcc_lo
	v_cmp_ne_u32_e32 vcc_lo, 0, v6
	s_sub_i32 s4, s1, s8
	s_add_i32 s4, s4, s0
	v_cndmask_b32_e64 v6, 0, 1, vcc_lo
	v_cmp_eq_u32_e32 vcc_lo, 0x40f, v18
	v_and_or_b32 v6, 0xffe, v15, v6
	v_cndmask_b32_e32 v8, v14, v8, vcc_lo
	v_lshrrev_b32_e32 v14, 16, v3
	v_sub_nc_u32_e32 v15, 0x3f1, v16
	v_bfe_u32 v18, v13, 20, 11
	v_or_b32_e32 v17, 0x1000, v6
	v_and_or_b32 v8, 0x8000, v9, v8
	v_mul_f16_sdwa v5, v81, v14 dst_sel:DWORD dst_unused:UNUSED_PAD src0_sel:WORD_1 src1_sel:DWORD
	v_med3_i32 v15, v15, 0, 13
	v_and_or_b32 v9, 0x1ff, v13, v12
	v_add_nc_u32_e32 v16, 0xfffffc10, v16
	v_lshl_or_b32 v12, v8, 16, v4
	v_fmac_f16_e32 v5, v81, v3
	v_lshrrev_b32_e32 v1, v15, v17
	v_cmp_ne_u32_e32 vcc_lo, 0, v9
	v_mul_f16_sdwa v3, v81, v3 dst_sel:DWORD dst_unused:UNUSED_PAD src0_sel:WORD_1 src1_sel:DWORD
	v_cvt_f32_f16_e32 v4, v5
	v_lshlrev_b32_e32 v8, v15, v1
	v_cndmask_b32_e64 v9, 0, 1, vcc_lo
	v_lshrrev_b32_e32 v15, 8, v13
	v_fma_f16 v3, v81, v14, -v3
	v_cvt_f64_f32_e32 v[4:5], v4
	v_cmp_ne_u32_e32 vcc_lo, v8, v17
	v_lshrrev_b32_e32 v13, 16, v13
	v_and_or_b32 v15, 0xffe, v15, v9
	v_sub_nc_u32_e32 v9, 0x3f1, v18
	v_cvt_f32_f16_e32 v3, v3
	v_cndmask_b32_e64 v8, 0, 1, vcc_lo
	v_cmp_gt_i32_e32 vcc_lo, 1, v16
	v_or_b32_e32 v17, 0x1000, v15
	v_med3_i32 v9, v9, 0, 13
	v_or_b32_e32 v1, v1, v8
	v_lshl_or_b32 v8, v16, 12, v6
	v_lshrrev_b32_e32 v19, v9, v17
	v_cndmask_b32_e32 v1, v8, v1, vcc_lo
	v_add_co_u32 v8, vcc_lo, v10, s5
	v_lshlrev_b32_e32 v20, v9, v19
	v_add_co_ci_u32_e32 v9, vcc_lo, s4, v11, vcc_lo
	v_and_b32_e32 v14, 7, v1
	v_mul_f64 v[4:5], v[4:5], s[6:7]
	v_cmp_ne_u32_e64 s0, v20, v17
	v_cvt_f64_f32_e32 v[10:11], v3
	v_lshrrev_b32_e32 v1, 2, v1
	v_cmp_lt_i32_e32 vcc_lo, 5, v14
	v_add_nc_u32_e32 v17, 0xfffffc10, v18
	v_cndmask_b32_e64 v3, 0, 1, s0
	v_cmp_eq_u32_e64 s0, 3, v14
	global_store_dword v[8:9], v12, off
	v_lshl_or_b32 v12, v17, 12, v15
	v_or_b32_e32 v3, v19, v3
	s_or_b32 vcc_lo, s0, vcc_lo
	v_add_co_ci_u32_e32 v1, vcc_lo, 0, v1, vcc_lo
	v_cmp_ne_u32_e32 vcc_lo, 0, v6
	v_cndmask_b32_e64 v6, 0, 1, vcc_lo
	v_cmp_gt_i32_e32 vcc_lo, 1, v17
	v_lshrrev_b32_e32 v19, 8, v5
	v_mul_f64 v[10:11], v[10:11], s[6:7]
	v_bfe_u32 v20, v5, 20, 11
	v_lshl_or_b32 v6, v6, 9, 0x7c00
	v_cndmask_b32_e32 v12, v12, v3, vcc_lo
	v_and_or_b32 v3, 0x1ff, v5, v4
	v_cmp_gt_i32_e32 vcc_lo, 31, v16
	v_and_b32_e32 v14, 7, v12
	v_cndmask_b32_e32 v1, 0x7c00, v1, vcc_lo
	v_cmp_ne_u32_e32 vcc_lo, 0, v3
	ds_read2_b32 v[3:4], v71 offset0:126 offset1:189
	v_cmp_eq_u32_e64 s0, 3, v14
	v_cndmask_b32_e64 v18, 0, 1, vcc_lo
	v_cmp_eq_u32_e32 vcc_lo, 0x40f, v16
	v_and_or_b32 v16, 0xffe, v19, v18
	v_cndmask_b32_e32 v1, v1, v6, vcc_lo
	v_cmp_lt_i32_e32 vcc_lo, 5, v14
	v_lshrrev_b32_e32 v14, 16, v7
	v_lshrrev_b32_e32 v7, 2, v12
	v_sub_nc_u32_e32 v6, 0x3f1, v20
	v_or_b32_e32 v12, 0x1000, v16
	s_or_b32 vcc_lo, s0, vcc_lo
	v_and_or_b32 v10, 0x1ff, v11, v10
	v_add_co_ci_u32_e32 v7, vcc_lo, 0, v7, vcc_lo
	v_med3_i32 v6, v6, 0, 13
	v_cmp_ne_u32_e32 vcc_lo, 0, v15
	s_waitcnt lgkmcnt(0)
	v_lshrrev_b32_e32 v19, 16, v3
	v_lshrrev_b32_e32 v22, 8, v11
	v_bfe_u32 v23, v11, 20, 11
	v_lshrrev_b32_e32 v18, v6, v12
	v_cndmask_b32_e64 v15, 0, 1, vcc_lo
	v_cmp_gt_i32_e32 vcc_lo, 31, v17
	v_add_nc_u32_e32 v20, 0xfffffc10, v20
	v_and_or_b32 v1, 0x8000, v14, v1
	v_lshlrev_b32_e32 v6, v6, v18
	v_lshl_or_b32 v15, v15, 9, 0x7c00
	v_cndmask_b32_e32 v21, 0x7c00, v7, vcc_lo
	v_cmp_ne_u32_e32 vcc_lo, 0, v10
	v_mul_f16_sdwa v7, v80, v19 dst_sel:DWORD dst_unused:UNUSED_PAD src0_sel:WORD_1 src1_sel:DWORD
	v_and_b32_e32 v1, 0xffff, v1
	v_lshrrev_b32_e32 v11, 16, v11
	v_cndmask_b32_e64 v10, 0, 1, vcc_lo
	v_cmp_ne_u32_e32 vcc_lo, v6, v12
	v_fmac_f16_e32 v7, v80, v3
	v_sub_nc_u32_e32 v12, 0x3f1, v23
	v_mul_f16_sdwa v3, v80, v3 dst_sel:DWORD dst_unused:UNUSED_PAD src0_sel:WORD_1 src1_sel:DWORD
	v_and_or_b32 v10, 0xffe, v22, v10
	v_cndmask_b32_e64 v6, 0, 1, vcc_lo
	v_cvt_f32_f16_e32 v7, v7
	v_lshl_or_b32 v22, v20, 12, v16
	v_med3_i32 v12, v12, 0, 13
	v_or_b32_e32 v24, 0x1000, v10
	v_or_b32_e32 v18, v18, v6
	v_cmp_gt_i32_e32 vcc_lo, 1, v20
	v_cvt_f64_f32_e32 v[6:7], v7
	v_fma_f16 v3, v80, v19, -v3
	v_add_nc_u32_e32 v19, 0xfffffc10, v23
	v_cndmask_b32_e32 v18, v22, v18, vcc_lo
	v_cmp_eq_u32_e32 vcc_lo, 0x40f, v17
	v_lshrrev_b32_e32 v17, v12, v24
	v_cvt_f32_f16_e32 v3, v3
	v_and_b32_e32 v14, 7, v18
	v_cndmask_b32_e32 v15, v21, v15, vcc_lo
	v_lshlrev_b32_e32 v12, v12, v17
	v_cmp_lt_i32_e32 vcc_lo, 5, v14
	v_and_or_b32 v15, 0x8000, v13, v15
	v_cmp_ne_u32_e64 s0, v12, v24
	v_lshl_or_b32 v1, v15, 16, v1
	v_cndmask_b32_e64 v12, 0, 1, s0
	v_cmp_eq_u32_e64 s0, 3, v14
	v_lshrrev_b32_e32 v14, 2, v18
	v_mul_f64 v[6:7], v[6:7], s[6:7]
	v_lshl_or_b32 v18, v19, 12, v10
	v_or_b32_e32 v17, v17, v12
	s_or_b32 vcc_lo, s0, vcc_lo
	v_cvt_f64_f32_e32 v[12:13], v3
	v_add_co_ci_u32_e32 v3, vcc_lo, 0, v14, vcc_lo
	v_cmp_ne_u32_e32 vcc_lo, 0, v16
	v_cndmask_b32_e64 v14, 0, 1, vcc_lo
	v_cmp_gt_i32_e32 vcc_lo, 1, v19
	v_lshl_or_b32 v14, v14, 9, 0x7c00
	v_cndmask_b32_e32 v16, v18, v17, vcc_lo
	v_cmp_gt_i32_e32 vcc_lo, 31, v20
	v_and_or_b32 v17, 0x1ff, v7, v6
	v_and_b32_e32 v15, 7, v16
	v_cndmask_b32_e32 v3, 0x7c00, v3, vcc_lo
	v_add_co_u32 v8, vcc_lo, v8, s3
	v_add_co_ci_u32_e32 v9, vcc_lo, s2, v9, vcc_lo
	v_cmp_eq_u32_e32 vcc_lo, 0x40f, v20
	v_cmp_ne_u32_e64 s1, 0, v17
	v_cmp_eq_u32_e64 s0, 3, v15
	v_bfe_u32 v17, v7, 20, 11
	global_store_dword v[8:9], v1, off
	v_cndmask_b32_e32 v3, v3, v14, vcc_lo
	v_lshrrev_b32_e32 v14, 16, v5
	v_mul_f64 v[5:6], v[12:13], s[6:7]
	v_cmp_lt_i32_e32 vcc_lo, 5, v15
	v_lshrrev_b32_e32 v15, 2, v16
	v_lshrrev_b32_e32 v16, 16, v2
	v_cndmask_b32_e64 v12, 0, 1, s1
	v_lshrrev_b32_e32 v13, 8, v7
	s_or_b32 vcc_lo, s0, vcc_lo
	v_and_or_b32 v3, 0x8000, v14, v3
	v_mul_f16_sdwa v18, v79, v16 dst_sel:DWORD dst_unused:UNUSED_PAD src0_sel:WORD_1 src1_sel:DWORD
	v_add_co_ci_u32_e32 v15, vcc_lo, 0, v15, vcc_lo
	v_and_or_b32 v20, 0xffe, v13, v12
	v_sub_nc_u32_e32 v12, 0x3f1, v17
	v_cmp_ne_u32_e32 vcc_lo, 0, v10
	v_fmac_f16_e32 v18, v79, v2
	v_add_nc_u32_e32 v17, 0xfffffc10, v17
	v_or_b32_e32 v21, 0x1000, v20
	v_med3_i32 v22, v12, 0, 13
	v_cndmask_b32_e64 v10, 0, 1, vcc_lo
	v_cmp_gt_i32_e32 vcc_lo, 31, v19
	v_cvt_f32_f16_e32 v12, v18
	v_mul_f16_sdwa v2, v79, v2 dst_sel:DWORD dst_unused:UNUSED_PAD src0_sel:WORD_1 src1_sel:DWORD
	v_lshrrev_b32_e32 v18, v22, v21
	v_lshl_or_b32 v10, v10, 9, 0x7c00
	v_cndmask_b32_e32 v15, 0x7c00, v15, vcc_lo
	v_and_or_b32 v5, 0x1ff, v6, v5
	v_cmp_eq_u32_e32 vcc_lo, 0x40f, v19
	v_cvt_f64_f32_e32 v[12:13], v12
	v_lshlrev_b32_e32 v14, v22, v18
	v_bfe_u32 v19, v6, 20, 11
	v_and_b32_e32 v3, 0xffff, v3
	v_cndmask_b32_e32 v10, v15, v10, vcc_lo
	v_cmp_ne_u32_e32 vcc_lo, 0, v5
	v_lshrrev_b32_e32 v15, 8, v6
	v_fma_f16 v1, v79, v16, -v2
	v_lshrrev_b32_e32 v7, 16, v7
	v_cndmask_b32_e64 v5, 0, 1, vcc_lo
	v_cmp_ne_u32_e32 vcc_lo, v14, v21
	v_and_or_b32 v21, 0x8000, v11, v10
	v_cvt_f32_f16_e32 v1, v1
	v_and_or_b32 v5, 0xffe, v15, v5
	v_cndmask_b32_e64 v14, 0, 1, vcc_lo
	v_sub_nc_u32_e32 v15, 0x3f1, v19
	v_cmp_gt_i32_e32 vcc_lo, 1, v17
	v_lshl_or_b32 v16, v21, 16, v3
	v_or_b32_e32 v22, 0x1000, v5
	v_or_b32_e32 v14, v18, v14
	v_lshl_or_b32 v18, v17, 12, v20
	v_med3_i32 v15, v15, 0, 13
	v_mul_f64 v[10:11], v[12:13], s[6:7]
	v_add_nc_u32_e32 v19, 0xfffffc10, v19
	v_cndmask_b32_e32 v14, v18, v14, vcc_lo
	v_lshrrev_b32_e32 v18, v15, v22
	v_and_b32_e32 v12, 7, v14
	v_lshlrev_b32_e32 v2, v15, v18
	v_lshrrev_b32_e32 v3, 2, v14
	v_add_nc_u32_e32 v14, 0xa00, v71
	v_cmp_lt_i32_e32 vcc_lo, 5, v12
	v_cmp_eq_u32_e64 s0, 3, v12
	v_cmp_ne_u32_e64 s1, v2, v22
	v_cvt_f64_f32_e32 v[12:13], v1
	s_or_b32 vcc_lo, s0, vcc_lo
	v_cndmask_b32_e64 v2, 0, 1, s1
	v_add_co_ci_u32_e32 v1, vcc_lo, 0, v3, vcc_lo
	v_cmp_ne_u32_e32 vcc_lo, 0, v20
	v_lshl_or_b32 v3, v19, 12, v5
	v_or_b32_e32 v2, v18, v2
	v_and_or_b32 v10, 0x1ff, v11, v10
	v_bfe_u32 v20, v11, 20, 11
	v_cndmask_b32_e64 v15, 0, 1, vcc_lo
	v_cmp_gt_i32_e32 vcc_lo, 1, v19
	v_lshl_or_b32 v15, v15, 9, 0x7c00
	v_cndmask_b32_e32 v18, v3, v2, vcc_lo
	v_cmp_ne_u32_e32 vcc_lo, 0, v10
	ds_read2_b32 v[2:3], v14 offset0:116 offset1:179
	v_lshrrev_b32_e32 v14, 8, v11
	v_mul_f64 v[12:13], v[12:13], s[6:7]
	v_and_b32_e32 v21, 7, v18
	v_cndmask_b32_e64 v10, 0, 1, vcc_lo
	v_cmp_gt_i32_e32 vcc_lo, 31, v17
	v_lshrrev_b32_e32 v11, 16, v11
	v_cmp_eq_u32_e64 s0, 3, v21
	v_and_or_b32 v10, 0xffe, v14, v10
	v_cndmask_b32_e32 v1, 0x7c00, v1, vcc_lo
	v_cmp_eq_u32_e32 vcc_lo, 0x40f, v17
	v_sub_nc_u32_e32 v14, 0x3f1, v20
	v_add_nc_u32_e32 v20, 0xfffffc10, v20
	v_cndmask_b32_e32 v1, v1, v15, vcc_lo
	v_cmp_lt_i32_e32 vcc_lo, 5, v21
	v_or_b32_e32 v15, 0x1000, v10
	v_med3_i32 v14, v14, 0, 13
	s_waitcnt lgkmcnt(0)
	v_lshrrev_b32_e32 v17, 16, v2
	v_and_or_b32 v1, 0x8000, v7, v1
	v_lshrrev_b32_e32 v7, 2, v18
	s_or_b32 vcc_lo, s0, vcc_lo
	v_lshrrev_b32_e32 v18, v14, v15
	v_mul_f16_sdwa v21, v78, v17 dst_sel:DWORD dst_unused:UNUSED_PAD src0_sel:WORD_1 src1_sel:DWORD
	v_and_or_b32 v12, 0x1ff, v13, v12
	v_add_co_ci_u32_e32 v7, vcc_lo, 0, v7, vcc_lo
	v_cmp_ne_u32_e32 vcc_lo, 0, v5
	v_lshlrev_b32_e32 v14, v14, v18
	v_fmac_f16_e32 v21, v78, v2
	v_bfe_u32 v23, v13, 20, 11
	v_and_b32_e32 v1, 0xffff, v1
	v_cndmask_b32_e64 v5, 0, 1, vcc_lo
	v_cmp_gt_i32_e32 vcc_lo, 31, v19
	v_mul_f16_sdwa v2, v78, v2 dst_sel:DWORD dst_unused:UNUSED_PAD src0_sel:WORD_1 src1_sel:DWORD
	v_lshl_or_b32 v5, v5, 9, 0x7c00
	v_cndmask_b32_e32 v7, 0x7c00, v7, vcc_lo
	v_cmp_ne_u32_e32 vcc_lo, v14, v15
	v_cvt_f32_f16_e32 v14, v21
	v_lshrrev_b32_e32 v21, 8, v13
	v_lshrrev_b32_e32 v13, 16, v13
	v_cndmask_b32_e64 v22, 0, 1, vcc_lo
	v_cmp_ne_u32_e32 vcc_lo, 0, v12
	v_cvt_f64_f32_e32 v[14:15], v14
	v_cndmask_b32_e64 v12, 0, 1, vcc_lo
	v_cmp_eq_u32_e32 vcc_lo, 0x40f, v19
	v_sub_nc_u32_e32 v19, 0x3f1, v23
	v_and_or_b32 v12, 0xffe, v21, v12
	v_cndmask_b32_e32 v7, v7, v5, vcc_lo
	v_or_b32_e32 v5, v18, v22
	v_lshl_or_b32 v18, v20, 12, v10
	v_cmp_gt_i32_e32 vcc_lo, 1, v20
	v_lshrrev_b32_e32 v21, 16, v6
	v_or_b32_e32 v22, 0x1000, v12
	v_med3_i32 v19, v19, 0, 13
	v_cndmask_b32_e32 v18, v18, v5, vcc_lo
	v_add_co_u32 v5, vcc_lo, v8, s3
	v_add_co_ci_u32_e32 v6, vcc_lo, s2, v9, vcc_lo
	v_and_or_b32 v9, 0x8000, v21, v7
	v_lshrrev_b32_e32 v21, v19, v22
	v_mul_f64 v[7:8], v[14:15], s[6:7]
	v_and_b32_e32 v24, 7, v18
	global_store_dword v[5:6], v16, off
	v_lshlrev_b32_e32 v14, v19, v21
	v_lshl_or_b32 v19, v9, 16, v1
	v_fma_f16 v1, v78, v17, -v2
	v_cmp_lt_i32_e32 vcc_lo, 5, v24
	v_lshrrev_b32_e32 v9, 2, v18
	v_cmp_ne_u32_e64 s0, v14, v22
	v_add_nc_u32_e32 v14, 0xfffffc10, v23
	v_cvt_f32_f16_e32 v1, v1
	v_cndmask_b32_e64 v2, 0, 1, s0
	v_cmp_eq_u32_e64 s0, 3, v24
	v_lshl_or_b32 v16, v14, 12, v12
	v_or_b32_e32 v15, v21, v2
	s_or_b32 vcc_lo, s0, vcc_lo
	v_cvt_f64_f32_e32 v[1:2], v1
	v_add_co_ci_u32_e32 v9, vcc_lo, 0, v9, vcc_lo
	v_cmp_ne_u32_e32 vcc_lo, 0, v10
	v_and_or_b32 v7, 0x1ff, v8, v7
	v_lshrrev_b32_e32 v17, 8, v8
	v_bfe_u32 v18, v8, 20, 11
	v_cndmask_b32_e64 v10, 0, 1, vcc_lo
	v_cmp_gt_i32_e32 vcc_lo, 1, v14
	v_lshl_or_b32 v10, v10, 9, 0x7c00
	v_cndmask_b32_e32 v15, v16, v15, vcc_lo
	v_cmp_gt_i32_e32 vcc_lo, 31, v20
	v_and_b32_e32 v16, 7, v15
	v_cndmask_b32_e32 v9, 0x7c00, v9, vcc_lo
	v_cmp_ne_u32_e32 vcc_lo, 0, v7
	v_cmp_eq_u32_e64 s0, 3, v16
	v_cndmask_b32_e64 v7, 0, 1, vcc_lo
	v_cmp_eq_u32_e32 vcc_lo, 0x40f, v20
	v_and_or_b32 v7, 0xffe, v17, v7
	v_cndmask_b32_e32 v20, v9, v10, vcc_lo
	v_cmp_lt_i32_e32 vcc_lo, 5, v16
	v_mul_f64 v[9:10], v[1:2], s[6:7]
	v_lshrrev_b32_e32 v1, 2, v15
	v_sub_nc_u32_e32 v17, 0x3f1, v18
	v_or_b32_e32 v2, 0x1000, v7
	s_or_b32 vcc_lo, s0, vcc_lo
	v_lshrrev_b32_e32 v16, 16, v4
	v_add_co_ci_u32_e32 v1, vcc_lo, 0, v1, vcc_lo
	v_med3_i32 v15, v17, 0, 13
	v_cmp_ne_u32_e32 vcc_lo, 0, v12
	v_mul_f16_sdwa v21, v77, v16 dst_sel:DWORD dst_unused:UNUSED_PAD src0_sel:WORD_1 src1_sel:DWORD
	v_and_or_b32 v11, 0x8000, v11, v20
	v_add_nc_u32_e32 v18, 0xfffffc10, v18
	v_lshrrev_b32_e32 v17, v15, v2
	v_cndmask_b32_e64 v12, 0, 1, vcc_lo
	v_cmp_gt_i32_e32 vcc_lo, 31, v14
	v_fmac_f16_e32 v21, v77, v4
	v_and_b32_e32 v11, 0xffff, v11
	v_lshlrev_b32_e32 v15, v15, v17
	v_lshl_or_b32 v12, v12, 9, 0x7c00
	v_cndmask_b32_e32 v1, 0x7c00, v1, vcc_lo
	v_cmp_eq_u32_e32 vcc_lo, 0x40f, v14
	v_and_or_b32 v9, 0x1ff, v10, v9
	v_bfe_u32 v20, v10, 20, 11
	v_cndmask_b32_e32 v12, v1, v12, vcc_lo
	v_cmp_ne_u32_e32 vcc_lo, v15, v2
	v_cvt_f32_f16_e32 v1, v21
	v_lshrrev_b32_e32 v15, 8, v10
	v_lshrrev_b32_e32 v10, 16, v10
	v_and_or_b32 v12, 0x8000, v13, v12
	v_cndmask_b32_e64 v14, 0, 1, vcc_lo
	v_cmp_ne_u32_e32 vcc_lo, 0, v9
	v_cvt_f64_f32_e32 v[1:2], v1
	v_lshl_or_b32 v22, v12, 16, v11
	v_or_b32_e32 v13, v17, v14
	v_cndmask_b32_e64 v9, 0, 1, vcc_lo
	v_lshl_or_b32 v14, v18, 12, v7
	v_cmp_gt_i32_e32 vcc_lo, 1, v18
	v_and_or_b32 v9, 0xffe, v15, v9
	v_sub_nc_u32_e32 v15, 0x3f1, v20
	v_cndmask_b32_e32 v17, v14, v13, vcc_lo
	v_add_co_u32 v5, vcc_lo, v5, s5
	v_or_b32_e32 v21, 0x1000, v9
	v_med3_i32 v15, v15, 0, 13
	v_add_co_ci_u32_e32 v6, vcc_lo, s4, v6, vcc_lo
	v_and_b32_e32 v23, 7, v17
	v_add_co_u32 v13, vcc_lo, v5, s3
	v_lshrrev_b32_e32 v24, v15, v21
	v_mul_f64 v[11:12], v[1:2], s[6:7]
	v_mul_f16_sdwa v1, v77, v4 dst_sel:DWORD dst_unused:UNUSED_PAD src0_sel:WORD_1 src1_sel:DWORD
	v_add_co_ci_u32_e32 v14, vcc_lo, s2, v6, vcc_lo
	v_lshlrev_b32_e32 v2, v15, v24
	v_cmp_lt_i32_e32 vcc_lo, 5, v23
	v_cmp_eq_u32_e64 s0, 3, v23
	v_fma_f16 v1, v77, v16, -v1
	v_lshrrev_b32_e32 v4, 2, v17
	v_cmp_ne_u32_e64 s1, v2, v21
	v_add_nc_u32_e32 v17, 0xfffffc10, v20
	s_or_b32 vcc_lo, s0, vcc_lo
	v_cvt_f32_f16_e32 v1, v1
	v_add_co_ci_u32_e32 v4, vcc_lo, 0, v4, vcc_lo
	v_cndmask_b32_e64 v2, 0, 1, s1
	v_cmp_ne_u32_e32 vcc_lo, 0, v7
	v_cvt_f64_f32_e32 v[15:16], v1
	v_lshl_or_b32 v20, v17, 12, v9
	v_add_nc_u32_e32 v1, 0x600, v71
	v_or_b32_e32 v2, v24, v2
	v_cndmask_b32_e64 v7, 0, 1, vcc_lo
	v_cmp_gt_i32_e32 vcc_lo, 1, v17
	v_and_or_b32 v11, 0x1ff, v12, v11
	v_lshrrev_b32_e32 v23, 8, v12
	v_bfe_u32 v24, v12, 20, 11
	v_lshl_or_b32 v7, v7, 9, 0x7c00
	v_cndmask_b32_e32 v20, v20, v2, vcc_lo
	v_cmp_gt_i32_e32 vcc_lo, 31, v18
	ds_read2_b32 v[1:2], v1 offset0:120 offset1:183
	global_store_dword v[5:6], v19, off
	global_store_dword v[13:14], v22, off
	v_lshrrev_b32_e32 v12, 16, v12
	v_and_b32_e32 v21, 7, v20
	v_cndmask_b32_e32 v4, 0x7c00, v4, vcc_lo
	v_cmp_ne_u32_e32 vcc_lo, 0, v11
	v_cmp_eq_u32_e64 s0, 3, v21
	v_cndmask_b32_e64 v11, 0, 1, vcc_lo
	v_cmp_eq_u32_e32 vcc_lo, 0x40f, v18
	v_lshrrev_b32_e32 v18, 16, v8
	v_and_or_b32 v11, 0xffe, v23, v11
	v_cndmask_b32_e32 v4, v4, v7, vcc_lo
	v_cmp_lt_i32_e32 vcc_lo, 5, v21
	v_mul_f64 v[7:8], v[15:16], s[6:7]
	v_lshrrev_b32_e32 v15, 2, v20
	v_sub_nc_u32_e32 v23, 0x3f1, v24
	v_or_b32_e32 v16, 0x1000, v11
	s_or_b32 vcc_lo, s0, vcc_lo
	s_waitcnt lgkmcnt(0)
	v_lshrrev_b32_e32 v21, 16, v1
	v_add_co_ci_u32_e32 v15, vcc_lo, 0, v15, vcc_lo
	v_med3_i32 v20, v23, 0, 13
	v_cmp_ne_u32_e32 vcc_lo, 0, v9
	v_and_or_b32 v4, 0x8000, v18, v4
	v_mul_f16_sdwa v23, v76, v21 dst_sel:DWORD dst_unused:UNUSED_PAD src0_sel:WORD_1 src1_sel:DWORD
	v_lshrrev_b32_e32 v25, v20, v16
	v_cndmask_b32_e64 v9, 0, 1, vcc_lo
	v_cmp_gt_i32_e32 vcc_lo, 31, v17
	v_fmac_f16_e32 v23, v76, v1
	v_and_b32_e32 v4, 0xffff, v4
	v_lshlrev_b32_e32 v18, v20, v25
	v_lshl_or_b32 v9, v9, 9, 0x7c00
	v_cndmask_b32_e32 v15, 0x7c00, v15, vcc_lo
	v_cmp_eq_u32_e32 vcc_lo, 0x40f, v17
	v_and_or_b32 v7, 0x1ff, v8, v7
	v_lshrrev_b32_e32 v20, 8, v8
	v_mul_f16_sdwa v1, v76, v1 dst_sel:DWORD dst_unused:UNUSED_PAD src0_sel:WORD_1 src1_sel:DWORD
	v_cndmask_b32_e32 v9, v15, v9, vcc_lo
	v_cmp_ne_u32_e32 vcc_lo, v18, v16
	v_add_nc_u32_e32 v18, 0xfffffc10, v24
	v_cvt_f32_f16_e32 v15, v23
	v_bfe_u32 v23, v8, 20, 11
	v_and_or_b32 v9, 0x8000, v10, v9
	v_cndmask_b32_e64 v17, 0, 1, vcc_lo
	v_cmp_ne_u32_e32 vcc_lo, 0, v7
	v_lshl_or_b32 v24, v18, 12, v11
	v_cvt_f64_f32_e32 v[15:16], v15
	v_lshl_or_b32 v19, v9, 16, v4
	v_or_b32_e32 v17, v25, v17
	v_cndmask_b32_e64 v7, 0, 1, vcc_lo
	v_cmp_gt_i32_e32 vcc_lo, 1, v18
	v_fma_f16 v1, v76, v21, -v1
	v_lshrrev_b32_e32 v8, 16, v8
	v_and_or_b32 v20, 0xffe, v20, v7
	v_sub_nc_u32_e32 v7, 0x3f1, v23
	v_cndmask_b32_e32 v17, v24, v17, vcc_lo
	v_cvt_f32_f16_e32 v1, v1
	v_or_b32_e32 v10, 0x1000, v20
	v_med3_i32 v7, v7, 0, 13
	v_and_b32_e32 v24, 7, v17
	v_lshrrev_b32_e32 v9, 2, v17
	v_lshrrev_b32_e32 v6, v7, v10
	v_cmp_lt_i32_e32 vcc_lo, 5, v24
	v_cmp_eq_u32_e64 s0, 3, v24
	v_mul_f64 v[4:5], v[15:16], s[6:7]
	v_add_nc_u32_e32 v15, 0xfffffc10, v23
	v_lshlrev_b32_e32 v7, v7, v6
	s_or_b32 vcc_lo, s0, vcc_lo
	v_add_co_ci_u32_e32 v9, vcc_lo, 0, v9, vcc_lo
	v_cmp_ne_u32_e32 vcc_lo, v7, v10
	v_cndmask_b32_e64 v7, 0, 1, vcc_lo
	v_cmp_ne_u32_e32 vcc_lo, 0, v11
	v_or_b32_e32 v6, v6, v7
	v_cndmask_b32_e64 v10, 0, 1, vcc_lo
	v_cmp_gt_i32_e32 vcc_lo, 31, v18
	v_lshl_or_b32 v7, v15, 12, v20
	v_lshl_or_b32 v16, v10, 9, 0x7c00
	v_cndmask_b32_e32 v11, 0x7c00, v9, vcc_lo
	v_cmp_gt_i32_e32 vcc_lo, 1, v15
	v_cndmask_b32_e32 v17, v7, v6, vcc_lo
	v_cvt_f64_f32_e32 v[6:7], v1
	v_add_co_u32 v9, vcc_lo, v13, s3
	v_add_co_ci_u32_e32 v10, vcc_lo, s2, v14, vcc_lo
	v_and_or_b32 v1, 0x1ff, v5, v4
	v_cmp_eq_u32_e32 vcc_lo, 0x40f, v18
	v_lshrrev_b32_e32 v13, 8, v5
	v_bfe_u32 v14, v5, 20, 11
	global_store_dword v[9:10], v19, off
	v_cndmask_b32_e32 v4, v11, v16, vcc_lo
	v_cmp_ne_u32_e32 vcc_lo, 0, v1
	v_and_b32_e32 v11, 7, v17
	v_lshrrev_b32_e32 v16, 16, v3
	v_lshrrev_b32_e32 v17, 2, v17
	v_and_or_b32 v4, 0x8000, v12, v4
	v_cndmask_b32_e64 v1, 0, 1, vcc_lo
	v_cmp_lt_i32_e32 vcc_lo, 5, v11
	v_cmp_eq_u32_e64 s0, 3, v11
	v_sub_nc_u32_e32 v11, 0x3f1, v14
	v_add_nc_u32_e32 v14, 0xfffffc10, v14
	v_mul_f64 v[6:7], v[6:7], s[6:7]
	v_and_or_b32 v1, 0xffe, v13, v1
	v_mul_f16_sdwa v13, v75, v16 dst_sel:DWORD dst_unused:UNUSED_PAD src0_sel:WORD_1 src1_sel:DWORD
	s_or_b32 vcc_lo, s0, vcc_lo
	v_med3_i32 v11, v11, 0, 13
	v_add_co_ci_u32_e32 v17, vcc_lo, 0, v17, vcc_lo
	v_or_b32_e32 v18, 0x1000, v1
	v_cmp_ne_u32_e32 vcc_lo, 0, v20
	v_fmac_f16_e32 v13, v75, v3
	v_and_b32_e32 v4, 0xffff, v4
	v_mul_f16_sdwa v3, v75, v3 dst_sel:DWORD dst_unused:UNUSED_PAD src0_sel:WORD_1 src1_sel:DWORD
	v_lshrrev_b32_e32 v21, v11, v18
	v_cndmask_b32_e64 v20, 0, 1, vcc_lo
	v_cmp_gt_i32_e32 vcc_lo, 31, v15
	v_cvt_f32_f16_e32 v13, v13
	v_fma_f16 v3, v75, v16, -v3
	v_lshlrev_b32_e32 v22, v11, v21
	v_lshl_or_b32 v20, v20, 9, 0x7c00
	v_cndmask_b32_e32 v17, 0x7c00, v17, vcc_lo
	v_cmp_eq_u32_e32 vcc_lo, 0x40f, v15
	v_cvt_f64_f32_e32 v[11:12], v13
	v_and_or_b32 v6, 0x1ff, v7, v6
	v_cvt_f32_f16_e32 v3, v3
	v_cndmask_b32_e32 v13, v17, v20, vcc_lo
	v_cmp_ne_u32_e32 vcc_lo, v22, v18
	v_lshrrev_b32_e32 v17, 8, v7
	v_bfe_u32 v18, v7, 20, 11
	v_lshrrev_b32_e32 v7, 16, v7
	v_and_or_b32 v8, 0x8000, v8, v13
	v_cndmask_b32_e64 v15, 0, 1, vcc_lo
	v_cmp_ne_u32_e32 vcc_lo, 0, v6
	v_lshl_or_b32 v4, v8, 16, v4
	v_or_b32_e32 v13, v21, v15
	v_lshl_or_b32 v15, v14, 12, v1
	v_cndmask_b32_e64 v6, 0, 1, vcc_lo
	v_cmp_gt_i32_e32 vcc_lo, 1, v14
	v_mul_f64 v[11:12], v[11:12], s[6:7]
	v_cndmask_b32_e32 v13, v15, v13, vcc_lo
	v_and_or_b32 v15, 0xffe, v17, v6
	v_sub_nc_u32_e32 v6, 0x3f1, v18
	v_add_co_u32 v8, vcc_lo, v9, s5
	v_and_b32_e32 v17, 7, v13
	v_or_b32_e32 v19, 0x1000, v15
	v_med3_i32 v6, v6, 0, 13
	v_add_co_ci_u32_e32 v9, vcc_lo, s4, v10, vcc_lo
	v_cmp_lt_i32_e32 vcc_lo, 5, v17
	v_cmp_eq_u32_e64 s0, 3, v17
	v_lshrrev_b32_e32 v10, v6, v19
	global_store_dword v[8:9], v4, off
	v_lshrrev_b32_e32 v4, 2, v13
	v_add_nc_u32_e32 v13, 0xfffffc10, v18
	s_or_b32 vcc_lo, s0, vcc_lo
	v_lshlrev_b32_e32 v6, v6, v10
	v_add_co_ci_u32_e32 v4, vcc_lo, 0, v4, vcc_lo
	v_and_or_b32 v11, 0x1ff, v12, v11
	v_cmp_ne_u32_e32 vcc_lo, v6, v19
	v_lshrrev_b32_e32 v17, 8, v12
	v_bfe_u32 v18, v12, 20, 11
	v_lshrrev_b32_e32 v12, 16, v12
	v_cndmask_b32_e64 v6, 0, 1, vcc_lo
	v_cmp_gt_i32_e32 vcc_lo, 31, v14
	v_or_b32_e32 v6, v10, v6
	v_cndmask_b32_e32 v16, 0x7c00, v4, vcc_lo
	v_cmp_ne_u32_e32 vcc_lo, 0, v11
	v_cvt_f64_f32_e32 v[3:4], v3
	v_lshl_or_b32 v10, v13, 12, v15
	v_cndmask_b32_e64 v11, 0, 1, vcc_lo
	v_cmp_ne_u32_e32 vcc_lo, 0, v1
	v_cndmask_b32_e64 v1, 0, 1, vcc_lo
	v_cmp_gt_i32_e32 vcc_lo, 1, v13
	v_lshl_or_b32 v1, v1, 9, 0x7c00
	v_cndmask_b32_e32 v6, v10, v6, vcc_lo
	v_and_or_b32 v10, 0xffe, v17, v11
	v_sub_nc_u32_e32 v11, 0x3f1, v18
	v_cmp_eq_u32_e32 vcc_lo, 0x40f, v14
	v_lshrrev_b32_e32 v17, 16, v0
	v_and_b32_e32 v19, 7, v6
	v_or_b32_e32 v20, 0x1000, v10
	v_med3_i32 v11, v11, 0, 13
	v_cndmask_b32_e32 v1, v16, v1, vcc_lo
	v_lshrrev_b32_e32 v16, 16, v5
	v_cmp_lt_i32_e32 vcc_lo, 5, v19
	v_cmp_eq_u32_e64 s0, 3, v19
	v_lshrrev_b32_e32 v5, 2, v6
	v_lshrrev_b32_e32 v14, v11, v20
	v_mul_f16_sdwa v21, v74, v17 dst_sel:DWORD dst_unused:UNUSED_PAD src0_sel:WORD_1 src1_sel:DWORD
	v_mul_f64 v[3:4], v[3:4], s[6:7]
	s_or_b32 vcc_lo, s0, vcc_lo
	v_add_nc_u32_e32 v18, 0xfffffc10, v18
	v_add_co_ci_u32_e32 v19, vcc_lo, 0, v5, vcc_lo
	v_lshlrev_b32_e32 v11, v11, v14
	v_cmp_ne_u32_e32 vcc_lo, 0, v15
	v_fmac_f16_e32 v21, v74, v0
	v_and_or_b32 v1, 0x8000, v16, v1
	v_mul_f16_sdwa v0, v74, v0 dst_sel:DWORD dst_unused:UNUSED_PAD src0_sel:WORD_1 src1_sel:DWORD
	v_cndmask_b32_e64 v15, 0, 1, vcc_lo
	v_cmp_ne_u32_e32 vcc_lo, v11, v20
	v_cvt_f32_f16_e32 v6, v21
	v_and_b32_e32 v1, 0xffff, v1
	v_fma_f16 v0, v74, v17, -v0
	v_lshl_or_b32 v15, v15, 9, 0x7c00
	v_cndmask_b32_e64 v11, 0, 1, vcc_lo
	v_cmp_gt_i32_e32 vcc_lo, 31, v13
	v_cvt_f64_f32_e32 v[5:6], v6
	v_cvt_f32_f16_e32 v0, v0
	v_lshrrev_b32_e32 v20, 16, v2
	v_or_b32_e32 v11, v14, v11
	v_cndmask_b32_e32 v19, 0x7c00, v19, vcc_lo
	v_cmp_eq_u32_e32 vcc_lo, 0x40f, v13
	v_lshl_or_b32 v14, v18, 12, v10
	v_and_or_b32 v3, 0x1ff, v4, v3
	v_cndmask_b32_e32 v13, v19, v15, vcc_lo
	v_cmp_gt_i32_e32 vcc_lo, 1, v18
	v_bfe_u32 v15, v4, 20, 11
	v_and_or_b32 v7, 0x8000, v7, v13
	v_cndmask_b32_e32 v11, v14, v11, vcc_lo
	v_cmp_ne_u32_e32 vcc_lo, 0, v3
	v_lshrrev_b32_e32 v14, 8, v4
	v_lshl_or_b32 v17, v7, 16, v1
	v_and_b32_e32 v19, 7, v11
	v_cndmask_b32_e64 v3, 0, 1, vcc_lo
	v_mul_f64 v[5:6], v[5:6], s[6:7]
	v_lshrrev_b32_e32 v11, 2, v11
	v_cmp_lt_i32_e32 vcc_lo, 5, v19
	v_and_or_b32 v3, 0xffe, v14, v3
	v_sub_nc_u32_e32 v14, 0x3f1, v15
	v_cmp_eq_u32_e64 s0, 3, v19
	v_or_b32_e32 v13, 0x1000, v3
	v_med3_i32 v14, v14, 0, 13
	s_or_b32 vcc_lo, s0, vcc_lo
	v_add_co_ci_u32_e32 v11, vcc_lo, 0, v11, vcc_lo
	v_lshrrev_b32_e32 v16, v14, v13
	v_cmp_gt_i32_e32 vcc_lo, 31, v18
	v_lshlrev_b32_e32 v1, v14, v16
	v_cndmask_b32_e32 v7, 0x7c00, v11, vcc_lo
	v_and_or_b32 v5, 0x1ff, v6, v5
	v_lshrrev_b32_e32 v14, 8, v6
	v_cmp_ne_u32_e32 vcc_lo, v1, v13
	v_cvt_f64_f32_e32 v[0:1], v0
	v_add_nc_u32_e32 v13, 0xfffffc10, v15
	v_bfe_u32 v15, v6, 20, 11
	v_cndmask_b32_e64 v11, 0, 1, vcc_lo
	v_cmp_ne_u32_e32 vcc_lo, 0, v5
	v_or_b32_e32 v11, v16, v11
	v_cndmask_b32_e64 v5, 0, 1, vcc_lo
	v_cmp_ne_u32_e32 vcc_lo, 0, v10
	v_lshl_or_b32 v16, v13, 12, v3
	v_and_or_b32 v5, 0xffe, v14, v5
	v_cndmask_b32_e64 v10, 0, 1, vcc_lo
	v_sub_nc_u32_e32 v14, 0x3f1, v15
	v_cmp_gt_i32_e32 vcc_lo, 1, v13
	v_lshl_or_b32 v10, v10, 9, 0x7c00
	v_med3_i32 v14, v14, 0, 13
	v_cndmask_b32_e32 v11, v16, v11, vcc_lo
	v_or_b32_e32 v16, 0x1000, v5
	v_cmp_eq_u32_e32 vcc_lo, 0x40f, v18
	v_mul_f64 v[0:1], v[0:1], s[6:7]
	v_and_b32_e32 v18, 7, v11
	v_lshrrev_b32_e32 v19, v14, v16
	v_cndmask_b32_e32 v10, v7, v10, vcc_lo
	v_add_co_u32 v7, vcc_lo, v8, s3
	v_add_co_ci_u32_e32 v8, vcc_lo, s2, v9, vcc_lo
	v_and_or_b32 v12, 0x8000, v12, v10
	v_lshlrev_b32_e32 v10, v14, v19
	v_mul_f16_sdwa v9, v73, v20 dst_sel:DWORD dst_unused:UNUSED_PAD src0_sel:WORD_1 src1_sel:DWORD
	v_cmp_lt_i32_e32 vcc_lo, 5, v18
	v_cmp_eq_u32_e64 s0, 3, v18
	v_lshrrev_b32_e32 v11, 2, v11
	v_cmp_ne_u32_e64 s1, v10, v16
	v_fmac_f16_e32 v9, v73, v2
	v_add_nc_u32_e32 v14, 0xfffffc10, v15
	s_or_b32 vcc_lo, s0, vcc_lo
	v_and_b32_e32 v12, 0xffff, v12
	v_add_co_ci_u32_e32 v11, vcc_lo, 0, v11, vcc_lo
	v_cndmask_b32_e64 v10, 0, 1, s1
	v_cmp_ne_u32_e32 vcc_lo, 0, v3
	v_cvt_f32_f16_e32 v9, v9
	v_lshl_or_b32 v16, v14, 12, v5
	v_and_or_b32 v0, 0x1ff, v1, v0
	v_or_b32_e32 v15, v19, v10
	v_cndmask_b32_e64 v3, 0, 1, vcc_lo
	v_cmp_gt_i32_e32 vcc_lo, 1, v14
	v_cvt_f64_f32_e32 v[9:10], v9
	v_bfe_u32 v18, v1, 20, 11
	v_mul_f16_sdwa v2, v73, v2 dst_sel:DWORD dst_unused:UNUSED_PAD src0_sel:WORD_1 src1_sel:DWORD
	v_lshl_or_b32 v3, v3, 9, 0x7c00
	v_cndmask_b32_e32 v15, v16, v15, vcc_lo
	v_cmp_ne_u32_e32 vcc_lo, 0, v0
	v_lshrrev_b32_e32 v16, 8, v1
	v_fma_f16 v2, v73, v20, -v2
	v_and_b32_e32 v19, 7, v15
	v_cndmask_b32_e64 v0, 0, 1, vcc_lo
	v_cmp_gt_i32_e32 vcc_lo, 31, v13
	v_cvt_f32_f16_e32 v2, v2
	v_cmp_eq_u32_e64 s0, 3, v19
	v_and_or_b32 v0, 0xffe, v16, v0
	v_cndmask_b32_e32 v11, 0x7c00, v11, vcc_lo
	v_cmp_eq_u32_e32 vcc_lo, 0x40f, v13
	v_lshrrev_b32_e32 v16, 16, v4
	v_sub_nc_u32_e32 v13, 0x3f1, v18
	v_or_b32_e32 v21, 0x1000, v0
	v_cndmask_b32_e32 v11, v11, v3, vcc_lo
	v_cmp_lt_i32_e32 vcc_lo, 5, v19
	v_mul_f64 v[3:4], v[9:10], s[6:7]
	v_med3_i32 v9, v13, 0, 13
	v_and_or_b32 v10, 0x8000, v16, v11
	v_lshrrev_b32_e32 v11, 2, v15
	s_or_b32 vcc_lo, s0, vcc_lo
	v_lshrrev_b32_e32 v13, v9, v21
	v_add_nc_u32_e32 v15, 0xfffffc10, v18
	v_lshl_or_b32 v12, v10, 16, v12
	v_add_co_ci_u32_e32 v11, vcc_lo, 0, v11, vcc_lo
	v_cmp_ne_u32_e32 vcc_lo, 0, v5
	v_lshlrev_b32_e32 v9, v9, v13
	v_lshrrev_b32_e32 v18, 16, v6
	v_cndmask_b32_e64 v5, 0, 1, vcc_lo
	v_cmp_gt_i32_e32 vcc_lo, 31, v14
	v_lshl_or_b32 v5, v5, 9, 0x7c00
	v_cndmask_b32_e32 v10, 0x7c00, v11, vcc_lo
	v_cmp_ne_u32_e32 vcc_lo, v9, v21
	ds_read_b32 v11, v71 offset:3528
	v_and_or_b32 v3, 0x1ff, v4, v3
	v_bfe_u32 v16, v4, 20, 11
	v_cndmask_b32_e64 v9, 0, 1, vcc_lo
	v_cmp_eq_u32_e32 vcc_lo, 0x40f, v14
	v_lshrrev_b32_e32 v14, 8, v4
	v_lshrrev_b32_e32 v4, 16, v4
	v_cndmask_b32_e32 v10, v10, v5, vcc_lo
	v_cmp_ne_u32_e32 vcc_lo, 0, v3
	v_or_b32_e32 v5, v13, v9
	v_lshl_or_b32 v9, v15, 12, v0
	v_cvt_f64_f32_e32 v[2:3], v2
	v_and_or_b32 v18, 0x8000, v18, v10
	v_cndmask_b32_e64 v13, 0, 1, vcc_lo
	v_cmp_gt_i32_e32 vcc_lo, 1, v15
	v_and_or_b32 v13, 0xffe, v14, v13
	v_cndmask_b32_e32 v9, v9, v5, vcc_lo
	v_sub_nc_u32_e32 v5, 0x3f1, v16
	s_waitcnt lgkmcnt(0)
	v_lshrrev_b32_e32 v14, 16, v11
	v_add_nc_u32_e32 v16, 0xfffffc10, v16
	v_or_b32_e32 v20, 0x1000, v13
	v_and_b32_e32 v19, 7, v9
	v_med3_i32 v21, v5, 0, 13
	v_mul_f16_sdwa v22, v72, v14 dst_sel:DWORD dst_unused:UNUSED_PAD src0_sel:WORD_1 src1_sel:DWORD
	v_add_co_u32 v5, vcc_lo, v7, s3
	v_add_co_ci_u32_e32 v6, vcc_lo, s2, v8, vcc_lo
	v_lshrrev_b32_e32 v23, v21, v20
	v_fmac_f16_e32 v22, v72, v11
	v_cmp_lt_i32_e32 vcc_lo, 5, v19
	v_cmp_eq_u32_e64 s0, 3, v19
	v_lshrrev_b32_e32 v9, 2, v9
	v_lshlrev_b32_e32 v19, v21, v23
	v_cvt_f32_f16_e32 v10, v22
	v_mul_f64 v[2:3], v[2:3], s[6:7]
	s_or_b32 vcc_lo, s0, vcc_lo
	v_mul_f16_sdwa v11, v72, v11 dst_sel:DWORD dst_unused:UNUSED_PAD src0_sel:WORD_1 src1_sel:DWORD
	v_add_co_ci_u32_e32 v21, vcc_lo, 0, v9, vcc_lo
	v_cmp_ne_u32_e32 vcc_lo, v19, v20
	v_cvt_f64_f32_e32 v[9:10], v10
	v_lshl_or_b32 v20, v16, 12, v13
	v_fma_f16 v11, v72, v14, -v11
	v_cndmask_b32_e64 v19, 0, 1, vcc_lo
	v_cmp_ne_u32_e32 vcc_lo, 0, v0
	v_cvt_f32_f16_e32 v11, v11
	v_or_b32_e32 v19, v23, v19
	v_cndmask_b32_e64 v0, 0, 1, vcc_lo
	v_cmp_gt_i32_e32 vcc_lo, 31, v15
	v_lshl_or_b32 v0, v0, 9, 0x7c00
	v_cndmask_b32_e32 v14, 0x7c00, v21, vcc_lo
	v_cmp_gt_i32_e32 vcc_lo, 1, v16
	v_and_or_b32 v2, 0x1ff, v3, v2
	v_bfe_u32 v21, v3, 20, 11
	v_cndmask_b32_e32 v19, v20, v19, vcc_lo
	v_cmp_eq_u32_e32 vcc_lo, 0x40f, v15
	v_mul_f64 v[9:10], v[9:10], s[6:7]
	v_lshrrev_b32_e32 v15, 16, v1
	v_lshrrev_b32_e32 v20, 8, v3
	;; [unrolled: 1-line block ×3, first 2 shown]
	v_cndmask_b32_e32 v14, v14, v0, vcc_lo
	v_cvt_f64_f32_e32 v[0:1], v11
	v_cmp_ne_u32_e32 vcc_lo, 0, v2
	v_and_b32_e32 v11, 7, v19
	v_and_or_b32 v14, 0x8000, v15, v14
	v_and_b32_e32 v15, 0xffff, v18
	v_cndmask_b32_e64 v2, 0, 1, vcc_lo
	v_cmp_lt_i32_e32 vcc_lo, 5, v11
	v_cmp_eq_u32_e64 s0, 3, v11
	v_sub_nc_u32_e32 v18, 0x3f1, v21
	v_lshl_or_b32 v11, v14, 16, v15
	v_lshrrev_b32_e32 v14, 2, v19
	v_and_or_b32 v2, 0xffe, v20, v2
	s_or_b32 vcc_lo, s0, vcc_lo
	v_med3_i32 v18, v18, 0, 13
	v_add_co_ci_u32_e32 v14, vcc_lo, 0, v14, vcc_lo
	v_or_b32_e32 v15, 0x1000, v2
	v_cmp_ne_u32_e32 vcc_lo, 0, v13
	v_and_or_b32 v9, 0x1ff, v10, v9
	v_lshrrev_b32_e32 v20, 8, v10
	v_mul_f64 v[0:1], v[0:1], s[6:7]
	v_lshrrev_b32_e32 v19, v18, v15
	v_cndmask_b32_e64 v13, 0, 1, vcc_lo
	v_cmp_gt_i32_e32 vcc_lo, 31, v16
	v_bfe_u32 v22, v10, 20, 11
	v_lshrrev_b32_e32 v10, 16, v10
	v_lshlrev_b32_e32 v18, v18, v19
	v_lshl_or_b32 v13, v13, 9, 0x7c00
	v_cndmask_b32_e32 v14, 0x7c00, v14, vcc_lo
	v_cmp_ne_u32_e32 vcc_lo, 0, v9
	v_cndmask_b32_e64 v9, 0, 1, vcc_lo
	v_cmp_ne_u32_e32 vcc_lo, v18, v15
	v_add_nc_u32_e32 v18, 0xfffffc10, v21
	v_and_or_b32 v9, 0xffe, v20, v9
	v_cndmask_b32_e64 v15, 0, 1, vcc_lo
	v_sub_nc_u32_e32 v20, 0x3f1, v22
	v_cmp_eq_u32_e32 vcc_lo, 0x40f, v16
	v_and_or_b32 v0, 0x1ff, v1, v0
	v_or_b32_e32 v16, 0x1000, v9
	v_bfe_u32 v21, v1, 20, 11
	v_cndmask_b32_e32 v13, v14, v13, vcc_lo
	v_or_b32_e32 v14, v19, v15
	v_lshl_or_b32 v15, v18, 12, v2
	v_med3_i32 v19, v20, 0, 13
	v_cmp_gt_i32_e32 vcc_lo, 1, v18
	v_lshrrev_b32_e32 v20, 8, v1
	v_and_or_b32 v4, 0x8000, v4, v13
	v_sub_nc_u32_e32 v13, 0x3f1, v21
	v_cndmask_b32_e32 v14, v15, v14, vcc_lo
	v_lshrrev_b32_e32 v15, v19, v16
	v_cmp_ne_u32_e32 vcc_lo, 0, v0
	v_med3_i32 v13, v13, 0, 13
	v_and_b32_e32 v23, 7, v14
	v_lshlrev_b32_e32 v19, v19, v15
	v_cndmask_b32_e64 v0, 0, 1, vcc_lo
	v_lshrrev_b32_e32 v14, 2, v14
	v_cmp_lt_i32_e32 vcc_lo, 5, v23
	v_cmp_ne_u32_e64 s0, v19, v16
	v_and_or_b32 v0, 0xffe, v20, v0
	v_add_nc_u32_e32 v20, 0xfffffc10, v22
	v_cndmask_b32_e64 v16, 0, 1, s0
	v_cmp_eq_u32_e64 s0, 3, v23
	v_or_b32_e32 v19, 0x1000, v0
	v_lshl_or_b32 v22, v20, 12, v9
	v_or_b32_e32 v15, v15, v16
	s_or_b32 vcc_lo, s0, vcc_lo
	v_lshrrev_b32_e32 v16, v13, v19
	v_add_co_ci_u32_e32 v14, vcc_lo, 0, v14, vcc_lo
	v_cmp_gt_i32_e32 vcc_lo, 1, v20
	v_lshlrev_b32_e32 v13, v13, v16
	v_cndmask_b32_e32 v15, v22, v15, vcc_lo
	v_cmp_ne_u32_e32 vcc_lo, 0, v2
	v_cndmask_b32_e64 v2, 0, 1, vcc_lo
	v_cmp_ne_u32_e32 vcc_lo, v13, v19
	v_add_nc_u32_e32 v19, 0xfffffc10, v21
	v_and_b32_e32 v21, 7, v15
	v_lshl_or_b32 v2, v2, 9, 0x7c00
	v_cndmask_b32_e64 v13, 0, 1, vcc_lo
	v_cmp_gt_i32_e32 vcc_lo, 31, v18
	v_cmp_gt_i32_e64 s1, 1, v19
	v_cmp_eq_u32_e64 s0, 3, v21
	v_or_b32_e32 v13, v16, v13
	v_lshl_or_b32 v16, v19, 12, v0
	v_cndmask_b32_e32 v14, 0x7c00, v14, vcc_lo
	v_cmp_lt_i32_e32 vcc_lo, 5, v21
	v_cndmask_b32_e64 v13, v16, v13, s1
	v_cmp_eq_u32_e64 s1, 0x40f, v18
	s_or_b32 vcc_lo, s0, vcc_lo
	v_cndmask_b32_e64 v2, v14, v2, s1
	v_lshrrev_b32_e32 v14, 2, v15
	v_and_b32_e32 v15, 7, v13
	v_lshrrev_b32_e32 v13, 2, v13
	v_cmp_gt_i32_e64 s1, 31, v20
	v_and_or_b32 v2, 0x8000, v3, v2
	v_add_co_ci_u32_e32 v14, vcc_lo, 0, v14, vcc_lo
	v_cmp_ne_u32_e32 vcc_lo, 0, v9
	v_cmp_eq_u32_e64 s0, 3, v15
	v_and_b32_e32 v3, 0xffff, v4
	v_cndmask_b32_e64 v14, 0x7c00, v14, s1
	v_cndmask_b32_e64 v9, 0, 1, vcc_lo
	v_cmp_lt_i32_e32 vcc_lo, 5, v15
	v_lshl_or_b32 v9, v9, 9, 0x7c00
	s_or_b32 vcc_lo, s0, vcc_lo
	v_add_co_ci_u32_e32 v13, vcc_lo, 0, v13, vcc_lo
	v_cmp_ne_u32_e32 vcc_lo, 0, v0
	v_cndmask_b32_e64 v0, 0, 1, vcc_lo
	v_cmp_eq_u32_e32 vcc_lo, 0x40f, v20
	v_lshl_or_b32 v0, v0, 9, 0x7c00
	v_cndmask_b32_e32 v9, v14, v9, vcc_lo
	v_cmp_gt_i32_e32 vcc_lo, 31, v19
	v_and_or_b32 v4, 0x8000, v10, v9
	v_cndmask_b32_e32 v13, 0x7c00, v13, vcc_lo
	v_cmp_eq_u32_e32 vcc_lo, 0x40f, v19
	v_lshrrev_b32_e32 v10, 16, v1
	v_and_b32_e32 v4, 0xffff, v4
	v_cndmask_b32_e32 v9, v13, v0, vcc_lo
	v_add_co_u32 v0, vcc_lo, v5, s5
	v_add_co_ci_u32_e32 v1, vcc_lo, s4, v6, vcc_lo
	v_lshl_or_b32 v13, v2, 16, v3
	v_and_or_b32 v9, 0x8000, v10, v9
	v_add_co_u32 v2, vcc_lo, v0, s3
	v_add_co_ci_u32_e32 v3, vcc_lo, s2, v1, vcc_lo
	v_lshl_or_b32 v4, v9, 16, v4
	v_add_co_u32 v9, vcc_lo, v2, s3
	v_add_co_ci_u32_e32 v10, vcc_lo, s2, v3, vcc_lo
	global_store_dword v[7:8], v17, off
	global_store_dword v[5:6], v12, off
	;; [unrolled: 1-line block ×5, first 2 shown]
.LBB0_10:
	s_endpgm
	.section	.rodata,"a",@progbits
	.p2align	6, 0x0
	.amdhsa_kernel bluestein_single_back_len945_dim1_half_op_CI_CI
		.amdhsa_group_segment_fixed_size 3780
		.amdhsa_private_segment_fixed_size 0
		.amdhsa_kernarg_size 104
		.amdhsa_user_sgpr_count 6
		.amdhsa_user_sgpr_private_segment_buffer 1
		.amdhsa_user_sgpr_dispatch_ptr 0
		.amdhsa_user_sgpr_queue_ptr 0
		.amdhsa_user_sgpr_kernarg_segment_ptr 1
		.amdhsa_user_sgpr_dispatch_id 0
		.amdhsa_user_sgpr_flat_scratch_init 0
		.amdhsa_user_sgpr_private_segment_size 0
		.amdhsa_wavefront_size32 1
		.amdhsa_uses_dynamic_stack 0
		.amdhsa_system_sgpr_private_segment_wavefront_offset 0
		.amdhsa_system_sgpr_workgroup_id_x 1
		.amdhsa_system_sgpr_workgroup_id_y 0
		.amdhsa_system_sgpr_workgroup_id_z 0
		.amdhsa_system_sgpr_workgroup_info 0
		.amdhsa_system_vgpr_workitem_id 0
		.amdhsa_next_free_vgpr 155
		.amdhsa_next_free_sgpr 20
		.amdhsa_reserve_vcc 1
		.amdhsa_reserve_flat_scratch 0
		.amdhsa_float_round_mode_32 0
		.amdhsa_float_round_mode_16_64 0
		.amdhsa_float_denorm_mode_32 3
		.amdhsa_float_denorm_mode_16_64 3
		.amdhsa_dx10_clamp 1
		.amdhsa_ieee_mode 1
		.amdhsa_fp16_overflow 0
		.amdhsa_workgroup_processor_mode 1
		.amdhsa_memory_ordered 1
		.amdhsa_forward_progress 0
		.amdhsa_shared_vgpr_count 0
		.amdhsa_exception_fp_ieee_invalid_op 0
		.amdhsa_exception_fp_denorm_src 0
		.amdhsa_exception_fp_ieee_div_zero 0
		.amdhsa_exception_fp_ieee_overflow 0
		.amdhsa_exception_fp_ieee_underflow 0
		.amdhsa_exception_fp_ieee_inexact 0
		.amdhsa_exception_int_div_zero 0
	.end_amdhsa_kernel
	.text
.Lfunc_end0:
	.size	bluestein_single_back_len945_dim1_half_op_CI_CI, .Lfunc_end0-bluestein_single_back_len945_dim1_half_op_CI_CI
                                        ; -- End function
	.section	.AMDGPU.csdata,"",@progbits
; Kernel info:
; codeLenInByte = 25744
; NumSgprs: 22
; NumVgprs: 155
; ScratchSize: 0
; MemoryBound: 0
; FloatMode: 240
; IeeeMode: 1
; LDSByteSize: 3780 bytes/workgroup (compile time only)
; SGPRBlocks: 2
; VGPRBlocks: 19
; NumSGPRsForWavesPerEU: 22
; NumVGPRsForWavesPerEU: 155
; Occupancy: 6
; WaveLimiterHint : 1
; COMPUTE_PGM_RSRC2:SCRATCH_EN: 0
; COMPUTE_PGM_RSRC2:USER_SGPR: 6
; COMPUTE_PGM_RSRC2:TRAP_HANDLER: 0
; COMPUTE_PGM_RSRC2:TGID_X_EN: 1
; COMPUTE_PGM_RSRC2:TGID_Y_EN: 0
; COMPUTE_PGM_RSRC2:TGID_Z_EN: 0
; COMPUTE_PGM_RSRC2:TIDIG_COMP_CNT: 0
	.text
	.p2alignl 6, 3214868480
	.fill 48, 4, 3214868480
	.type	__hip_cuid_f94bb4314b018ce5,@object ; @__hip_cuid_f94bb4314b018ce5
	.section	.bss,"aw",@nobits
	.globl	__hip_cuid_f94bb4314b018ce5
__hip_cuid_f94bb4314b018ce5:
	.byte	0                               ; 0x0
	.size	__hip_cuid_f94bb4314b018ce5, 1

	.ident	"AMD clang version 19.0.0git (https://github.com/RadeonOpenCompute/llvm-project roc-6.4.0 25133 c7fe45cf4b819c5991fe208aaa96edf142730f1d)"
	.section	".note.GNU-stack","",@progbits
	.addrsig
	.addrsig_sym __hip_cuid_f94bb4314b018ce5
	.amdgpu_metadata
---
amdhsa.kernels:
  - .args:
      - .actual_access:  read_only
        .address_space:  global
        .offset:         0
        .size:           8
        .value_kind:     global_buffer
      - .actual_access:  read_only
        .address_space:  global
        .offset:         8
        .size:           8
        .value_kind:     global_buffer
      - .actual_access:  read_only
        .address_space:  global
        .offset:         16
        .size:           8
        .value_kind:     global_buffer
      - .actual_access:  read_only
        .address_space:  global
        .offset:         24
        .size:           8
        .value_kind:     global_buffer
      - .actual_access:  read_only
        .address_space:  global
        .offset:         32
        .size:           8
        .value_kind:     global_buffer
      - .offset:         40
        .size:           8
        .value_kind:     by_value
      - .address_space:  global
        .offset:         48
        .size:           8
        .value_kind:     global_buffer
      - .address_space:  global
        .offset:         56
        .size:           8
        .value_kind:     global_buffer
      - .address_space:  global
        .offset:         64
        .size:           8
        .value_kind:     global_buffer
      - .address_space:  global
        .offset:         72
        .size:           8
        .value_kind:     global_buffer
      - .offset:         80
        .size:           4
        .value_kind:     by_value
      - .address_space:  global
        .offset:         88
        .size:           8
        .value_kind:     global_buffer
      - .address_space:  global
        .offset:         96
        .size:           8
        .value_kind:     global_buffer
    .group_segment_fixed_size: 3780
    .kernarg_segment_align: 8
    .kernarg_segment_size: 104
    .language:       OpenCL C
    .language_version:
      - 2
      - 0
    .max_flat_workgroup_size: 63
    .name:           bluestein_single_back_len945_dim1_half_op_CI_CI
    .private_segment_fixed_size: 0
    .sgpr_count:     22
    .sgpr_spill_count: 0
    .symbol:         bluestein_single_back_len945_dim1_half_op_CI_CI.kd
    .uniform_work_group_size: 1
    .uses_dynamic_stack: false
    .vgpr_count:     155
    .vgpr_spill_count: 0
    .wavefront_size: 32
    .workgroup_processor_mode: 1
amdhsa.target:   amdgcn-amd-amdhsa--gfx1030
amdhsa.version:
  - 1
  - 2
...

	.end_amdgpu_metadata
